;; amdgpu-corpus repo=ROCm/rocFFT kind=compiled arch=gfx1201 opt=O3
	.text
	.amdgcn_target "amdgcn-amd-amdhsa--gfx1201"
	.amdhsa_code_object_version 6
	.protected	fft_rtc_back_len17_factors_17_wgs_120_tpt_1_sp_op_CI_CI_sbrc_z_xy_unaligned ; -- Begin function fft_rtc_back_len17_factors_17_wgs_120_tpt_1_sp_op_CI_CI_sbrc_z_xy_unaligned
	.globl	fft_rtc_back_len17_factors_17_wgs_120_tpt_1_sp_op_CI_CI_sbrc_z_xy_unaligned
	.p2align	8
	.type	fft_rtc_back_len17_factors_17_wgs_120_tpt_1_sp_op_CI_CI_sbrc_z_xy_unaligned,@function
fft_rtc_back_len17_factors_17_wgs_120_tpt_1_sp_op_CI_CI_sbrc_z_xy_unaligned: ; @fft_rtc_back_len17_factors_17_wgs_120_tpt_1_sp_op_CI_CI_sbrc_z_xy_unaligned
; %bb.0:
	s_load_b256 s[4:11], s[0:1], 0x8
	v_lshl_add_u32 v3, v0, 3, 0
	s_wait_kmcnt 0x0
	s_load_b128 s[12:15], s[6:7], 0x8
	s_load_b32 s24, s[8:9], 0x10
	s_wait_kmcnt 0x0
	s_add_co_i32 s2, s12, -1
	s_delay_alu instid0(SALU_CYCLE_1) | instskip(NEXT) | instid1(SALU_CYCLE_1)
	s_mul_hi_u32 s2, s2, 0x88888889
	s_lshr_b32 s2, s2, 6
	s_delay_alu instid0(SALU_CYCLE_1) | instskip(NEXT) | instid1(SALU_CYCLE_1)
	s_add_co_i32 s3, s2, 1
	s_mul_i32 s6, s3, s14
	s_cvt_f32_u32 s13, s3
	s_cvt_f32_u32 s7, s6
	s_sub_co_i32 s14, 0, s6
	s_delay_alu instid0(SALU_CYCLE_2) | instskip(NEXT) | instid1(TRANS32_DEP_1)
	v_rcp_iflag_f32_e32 v1, s7
	v_readfirstlane_b32 s7, v1
	v_rcp_iflag_f32_e32 v1, s13
	s_delay_alu instid0(VALU_DEP_1) | instskip(SKIP_1) | instid1(SALU_CYCLE_2)
	s_mul_f32 s7, s7, 0x4f7ffffe
	s_wait_alu 0xfffe
	s_cvt_u32_f32 s7, s7
	s_wait_alu 0xfffe
	s_delay_alu instid0(SALU_CYCLE_2) | instskip(NEXT) | instid1(SALU_CYCLE_1)
	s_mul_i32 s14, s14, s7
	s_mul_hi_u32 s13, s7, s14
	s_delay_alu instid0(TRANS32_DEP_1)
	v_readfirstlane_b32 s14, v1
	s_wait_alu 0xfffe
	s_add_co_i32 s7, s7, s13
	s_wait_alu 0xfffe
	s_mul_hi_u32 s7, ttmp9, s7
	s_mul_f32 s14, s14, 0x4f7ffffe
	s_wait_alu 0xfffe
	s_mul_i32 s13, s7, s6
	s_add_co_i32 s15, s7, 1
	s_wait_alu 0xfffe
	s_sub_co_i32 s13, ttmp9, s13
	s_wait_alu 0xfffe
	s_sub_co_i32 s16, s13, s6
	s_cmp_ge_u32 s13, s6
	s_cselect_b32 s7, s15, s7
	s_cselect_b32 s13, s16, s13
	s_load_b128 s[16:19], s[8:9], 0x0
	s_add_co_i32 s15, s7, 1
	s_cmp_ge_u32 s13, s6
	s_cvt_u32_f32 s13, s14
	s_cselect_b32 s14, s15, s7
	s_not_b32 s2, s2
	s_mul_i32 s6, s14, s6
	s_wait_alu 0xfffe
	s_mul_i32 s2, s2, s13
	s_sub_co_i32 s6, ttmp9, s6
	s_mul_hi_u32 s2, s13, s2
	s_delay_alu instid0(SALU_CYCLE_1)
	s_add_co_i32 s13, s13, s2
	s_wait_alu 0xfffe
	s_mul_hi_u32 s2, s6, s13
	s_mul_hi_u32 s13, ttmp9, s13
	s_mul_i32 s7, s2, s3
	s_wait_alu 0xfffe
	s_sub_co_i32 s6, s6, s7
	s_add_co_i32 s7, s2, 1
	s_wait_alu 0xfffe
	s_sub_co_i32 s15, s6, s3
	s_cmp_ge_u32 s6, s3
	s_cselect_b32 s2, s7, s2
	s_cselect_b32 s6, s15, s6
	s_add_co_i32 s7, s2, 1
	s_wait_alu 0xfffe
	s_cmp_ge_u32 s6, s3
	s_mul_i32 s6, s13, s3
	s_cselect_b32 s13, s7, s2
	s_wait_alu 0xfffe
	s_sub_co_i32 s2, ttmp9, s6
	s_mov_b32 s15, 0
	s_sub_co_i32 s6, s2, s3
	s_cmp_ge_u32 s2, s3
	s_mov_b32 s25, s15
	s_wait_alu 0xfffe
	s_cselect_b32 s2, s6, s2
	s_delay_alu instid0(SALU_CYCLE_1)
	s_sub_co_i32 s6, s2, s3
	s_cmp_ge_u32 s2, s3
	s_wait_kmcnt 0x0
	s_wait_alu 0xfffe
	s_cselect_b32 s19, s6, s2
	s_lshl_b64 s[2:3], s[4:5], 3
	s_delay_alu instid0(SALU_CYCLE_1)
	s_add_nc_u64 s[4:5], s[8:9], s[2:3]
	s_load_b64 s[22:23], s[4:5], 0x0
	s_load_b64 s[20:21], s[0:1], 0x58
	s_load_b128 s[4:7], s[10:11], 0x0
	s_add_nc_u64 s[8:9], s[10:11], s[2:3]
	s_clause 0x1
	s_load_b64 s[2:3], s[10:11], 0x10
	s_load_b64 s[10:11], s[8:9], 0x0
	s_mul_i32 s8, s19, 0x78
	s_wait_kmcnt 0x0
	s_mul_i32 s3, s13, s24
	s_mul_i32 s9, s8, s18
	s_add_co_i32 s19, s8, 0x78
	s_add_co_i32 s24, s9, s3
	s_cmp_le_u32 s19, s12
	s_mov_b32 s7, -1
	s_cselect_b32 s3, -1, 0
	s_delay_alu instid0(SALU_CYCLE_1) | instskip(SKIP_1) | instid1(SALU_CYCLE_1)
	s_and_b32 vcc_lo, exec_lo, s3
	s_mul_u64 s[22:23], s[22:23], s[14:15]
	s_add_nc_u64 s[22:23], s[22:23], s[24:25]
	s_cbranch_vccnz .LBB0_4
; %bb.1:
	v_dual_mov_b32 v2, 0 :: v_dual_mov_b32 v5, v3
	v_mov_b32_e32 v4, v0
	s_lshl_b64 s[24:25], s[22:23], 3
	s_mov_b32 s7, s15
	s_add_nc_u64 s[24:25], s[20:21], s[24:25]
.LBB0_2:                                ; =>This Inner Loop Header: Depth=1
	s_delay_alu instid0(VALU_DEP_1) | instskip(NEXT) | instid1(VALU_DEP_1)
	v_and_b32_e32 v1, 0xffff, v4
	v_mul_u32_u24_e32 v1, 0xf0f1, v1
	s_delay_alu instid0(VALU_DEP_1) | instskip(NEXT) | instid1(VALU_DEP_1)
	v_lshrrev_b32_e32 v9, 20, v1
	v_mul_lo_u16 v1, v9, 17
	s_delay_alu instid0(VALU_DEP_1) | instskip(SKIP_1) | instid1(VALU_DEP_2)
	v_sub_nc_u16 v1, v4, v1
	v_add_nc_u32_e32 v4, 0x78, v4
	v_and_b32_e32 v8, 0xffff, v1
	s_delay_alu instid0(VALU_DEP_1) | instskip(NEXT) | instid1(VALU_DEP_1)
	v_mad_co_u64_u32 v[6:7], null, s16, v8, 0
	v_mov_b32_e32 v1, v7
	s_delay_alu instid0(VALU_DEP_1) | instskip(SKIP_1) | instid1(VALU_DEP_2)
	v_mad_co_u64_u32 v[7:8], null, s17, v8, v[1:2]
	v_mul_lo_u32 v1, s18, v9
	v_lshlrev_b64_e32 v[6:7], 3, v[6:7]
	s_delay_alu instid0(VALU_DEP_2) | instskip(NEXT) | instid1(VALU_DEP_2)
	v_lshlrev_b64_e32 v[8:9], 3, v[1:2]
	v_add_co_u32 v1, vcc_lo, s24, v6
	s_wait_alu 0xfffd
	s_delay_alu instid0(VALU_DEP_3) | instskip(NEXT) | instid1(VALU_DEP_2)
	v_add_co_ci_u32_e32 v7, vcc_lo, s25, v7, vcc_lo
	v_add_co_u32 v6, vcc_lo, v1, v8
	s_wait_alu 0xfffd
	s_delay_alu instid0(VALU_DEP_2)
	v_add_co_ci_u32_e32 v7, vcc_lo, v7, v9, vcc_lo
	v_cmp_lt_u32_e32 vcc_lo, 0x7f7, v4
	global_load_b64 v[6:7], v[6:7], off
	s_wait_alu 0xfffe
	s_or_b32 s7, vcc_lo, s7
	s_wait_loadcnt 0x0
	ds_store_b64 v5, v[6:7]
	v_add_nc_u32_e32 v5, 0x3c0, v5
	s_wait_alu 0xfffe
	s_and_not1_b32 exec_lo, exec_lo, s7
	s_cbranch_execnz .LBB0_2
; %bb.3:
	s_or_b32 exec_lo, exec_lo, s7
	s_mov_b32 s7, 0
.LBB0_4:
	s_wait_alu 0xfffe
	s_and_b32 vcc_lo, exec_lo, s7
	s_wait_alu 0xfffe
	s_cbranch_vccz .LBB0_6
; %bb.5:
	v_mul_u32_u24_e32 v1, 0xf10, v0
	v_add_nc_u32_e32 v4, 0x78, v0
	v_dual_mov_b32 v2, 0 :: v_dual_add_nc_u32 v7, 0xf0, v0
	v_add_nc_u32_e32 v12, 0x168, v0
	s_delay_alu instid0(VALU_DEP_4) | instskip(NEXT) | instid1(VALU_DEP_4)
	v_lshrrev_b32_e32 v1, 16, v1
	v_mul_u32_u24_e32 v5, 0xf10, v4
	s_lshl_b64 s[22:23], s[22:23], 3
	v_add_nc_u32_e32 v33, 0x5a0, v0
	v_mul_u32_u24_e32 v8, 0xf10, v12
	v_mul_lo_u16 v6, v1, 17
	v_lshrrev_b32_e32 v13, 16, v5
	v_mul_lo_u32 v1, s18, v1
	s_add_nc_u64 s[20:21], s[20:21], s[22:23]
	v_lshrrev_b32_e32 v20, 16, v8
	v_sub_nc_u16 v5, v0, v6
	v_mul_u32_u24_e32 v6, 0xf10, v7
	v_mul_lo_u16 v9, v13, 17
	v_or_b32_e32 v39, 0x780, v0
	v_mul_lo_u16 v14, v20, 17
	v_and_b32_e32 v10, 0xffff, v5
	v_lshrrev_b32_e32 v19, 16, v6
	v_sub_nc_u16 v6, v4, v9
	s_delay_alu instid0(VALU_DEP_3) | instskip(NEXT) | instid1(VALU_DEP_3)
	v_mad_co_u64_u32 v[4:5], null, s16, v10, 0
	v_mul_lo_u16 v8, v19, 17
	s_delay_alu instid0(VALU_DEP_3) | instskip(NEXT) | instid1(VALU_DEP_2)
	v_and_b32_e32 v15, 0xffff, v6
	v_sub_nc_u16 v11, v7, v8
	v_lshlrev_b64_e32 v[6:7], 3, v[1:2]
	v_mov_b32_e32 v1, v5
	v_sub_nc_u16 v5, v12, v14
	v_mad_co_u64_u32 v[8:9], null, s16, v15, 0
	v_and_b32_e32 v17, 0xffff, v11
	s_delay_alu instid0(VALU_DEP_4) | instskip(SKIP_2) | instid1(VALU_DEP_4)
	v_mad_co_u64_u32 v[10:11], null, s17, v10, v[1:2]
	v_mul_lo_u32 v1, s18, v13
	v_and_b32_e32 v23, 0xffff, v5
	v_mad_co_u64_u32 v[11:12], null, s16, v17, 0
	s_delay_alu instid0(VALU_DEP_4) | instskip(SKIP_2) | instid1(VALU_DEP_4)
	v_mov_b32_e32 v5, v10
	v_mad_co_u64_u32 v[9:10], null, s17, v15, v[9:10]
	v_lshlrev_b64_e32 v[13:14], 3, v[1:2]
	v_mov_b32_e32 v1, v12
	s_delay_alu instid0(VALU_DEP_4) | instskip(SKIP_1) | instid1(VALU_DEP_3)
	v_lshlrev_b64_e32 v[4:5], 3, v[4:5]
	v_mad_co_u64_u32 v[15:16], null, s16, v23, 0
	v_mad_co_u64_u32 v[17:18], null, s17, v17, v[1:2]
	v_add_nc_u32_e32 v21, 0x1e0, v0
	s_delay_alu instid0(VALU_DEP_4)
	v_add_co_u32 v1, vcc_lo, s20, v4
	s_wait_alu 0xfffd
	v_add_co_ci_u32_e32 v10, vcc_lo, s21, v5, vcc_lo
	v_lshlrev_b64_e32 v[4:5], 3, v[8:9]
	v_mov_b32_e32 v12, v17
	v_mul_u32_u24_e32 v22, 0xf10, v21
	v_add_co_u32 v6, vcc_lo, v1, v6
	s_wait_alu 0xfffd
	v_add_co_ci_u32_e32 v7, vcc_lo, v10, v7, vcc_lo
	v_add_co_u32 v4, vcc_lo, s20, v4
	v_lshrrev_b32_e32 v17, 16, v22
	s_wait_alu 0xfffd
	v_add_co_ci_u32_e32 v5, vcc_lo, s21, v5, vcc_lo
	v_dual_mov_b32 v1, v16 :: v_dual_add_nc_u32 v18, 0x258, v0
	v_add_co_u32 v4, vcc_lo, v4, v13
	v_mul_lo_u16 v13, v17, 17
	v_lshlrev_b64_e32 v[8:9], 3, v[11:12]
	s_delay_alu instid0(VALU_DEP_4) | instskip(SKIP_1) | instid1(VALU_DEP_4)
	v_mad_co_u64_u32 v[10:11], null, s17, v23, v[1:2]
	v_mul_lo_u32 v1, s18, v19
	v_sub_nc_u16 v11, v21, v13
	v_mul_u32_u24_e32 v22, 0xf10, v18
	s_wait_alu 0xfffd
	v_add_co_ci_u32_e32 v5, vcc_lo, v5, v14, vcc_lo
	v_add_co_u32 v14, vcc_lo, s20, v8
	v_and_b32_e32 v21, 0xffff, v11
	s_wait_alu 0xfffd
	v_add_co_ci_u32_e32 v19, vcc_lo, s21, v9, vcc_lo
	v_mov_b32_e32 v16, v10
	v_lshlrev_b64_e32 v[8:9], 3, v[1:2]
	v_mul_lo_u32 v1, s18, v20
	v_lshrrev_b32_e32 v20, 16, v22
	v_mad_co_u64_u32 v[12:13], null, s16, v21, 0
	v_lshlrev_b64_e32 v[10:11], 3, v[15:16]
	v_add_co_u32 v8, vcc_lo, v14, v8
	s_delay_alu instid0(VALU_DEP_4)
	v_mul_lo_u16 v16, v20, 17
	v_lshlrev_b64_e32 v[14:15], 3, v[1:2]
	s_wait_alu 0xfffd
	v_add_co_ci_u32_e32 v9, vcc_lo, v19, v9, vcc_lo
	v_mov_b32_e32 v1, v13
	v_sub_nc_u16 v13, v18, v16
	v_add_nc_u32_e32 v16, 0x2d0, v0
	v_add_co_u32 v10, vcc_lo, s20, v10
	s_wait_alu 0xfffd
	v_add_co_ci_u32_e32 v11, vcc_lo, s21, v11, vcc_lo
	s_delay_alu instid0(VALU_DEP_3) | instskip(NEXT) | instid1(VALU_DEP_3)
	v_mul_u32_u24_e32 v19, 0xf10, v16
	v_add_co_u32 v10, vcc_lo, v10, v14
	v_and_b32_e32 v18, 0xffff, v13
	v_mad_co_u64_u32 v[13:14], null, s17, v21, v[1:2]
	s_delay_alu instid0(VALU_DEP_4)
	v_lshrrev_b32_e32 v22, 16, v19
	v_add_nc_u32_e32 v21, 0x348, v0
	v_mul_lo_u32 v1, s18, v17
	s_wait_alu 0xfffd
	v_add_co_ci_u32_e32 v11, vcc_lo, v11, v15, vcc_lo
	v_mul_lo_u16 v19, v22, 17
	v_mad_co_u64_u32 v[14:15], null, s16, v18, 0
	v_lshlrev_b64_e32 v[12:13], 3, v[12:13]
	s_clause 0x3
	global_load_b64 v[6:7], v[6:7], off
	global_load_b64 v[4:5], v[4:5], off
	global_load_b64 v[8:9], v[8:9], off
	global_load_b64 v[10:11], v[10:11], off
	v_sub_nc_u16 v17, v16, v19
	v_mul_u32_u24_e32 v19, 0xf10, v21
	v_mad_co_u64_u32 v[15:16], null, s17, v18, v[15:16]
	s_delay_alu instid0(VALU_DEP_2)
	v_lshrrev_b32_e32 v23, 16, v19
	v_add_co_u32 v19, vcc_lo, s20, v12
	v_and_b32_e32 v18, 0xffff, v17
	s_wait_alu 0xfffd
	v_add_co_ci_u32_e32 v24, vcc_lo, s21, v13, vcc_lo
	v_mul_lo_u16 v25, v23, 17
	v_lshlrev_b64_e32 v[12:13], 3, v[1:2]
	v_mad_co_u64_u32 v[16:17], null, s16, v18, 0
	v_mul_lo_u32 v1, s18, v20
	s_delay_alu instid0(VALU_DEP_4)
	v_sub_nc_u16 v21, v21, v25
	v_add_nc_u32_e32 v25, 0x3c0, v0
	v_add_co_u32 v12, vcc_lo, v19, v12
	s_wait_alu 0xfffd
	v_add_co_ci_u32_e32 v13, vcc_lo, v24, v13, vcc_lo
	v_and_b32_e32 v24, 0xffff, v21
	v_lshlrev_b64_e32 v[14:15], 3, v[14:15]
	v_mad_co_u64_u32 v[17:18], null, s17, v18, v[17:18]
	v_mul_u32_u24_e32 v26, 0xf10, v25
	s_delay_alu instid0(VALU_DEP_4)
	v_mad_co_u64_u32 v[18:19], null, s16, v24, 0
	v_lshlrev_b64_e32 v[20:21], 3, v[1:2]
	v_add_co_u32 v14, vcc_lo, s20, v14
	s_wait_alu 0xfffd
	v_add_co_ci_u32_e32 v15, vcc_lo, s21, v15, vcc_lo
	v_lshrrev_b32_e32 v26, 16, v26
	v_mov_b32_e32 v1, v19
	v_add_co_u32 v14, vcc_lo, v14, v20
	s_wait_alu 0xfffd
	v_add_co_ci_u32_e32 v15, vcc_lo, v15, v21, vcc_lo
	v_mul_lo_u16 v21, v26, 17
	v_lshlrev_b64_e32 v[16:17], 3, v[16:17]
	v_mad_co_u64_u32 v[19:20], null, s17, v24, v[1:2]
	v_mul_lo_u32 v1, s18, v22
	v_add_nc_u32_e32 v24, 0x438, v0
	v_sub_nc_u16 v20, v25, v21
	v_add_co_u32 v22, vcc_lo, s20, v16
	s_wait_alu 0xfffd
	v_add_co_ci_u32_e32 v25, vcc_lo, s21, v17, vcc_lo
	v_mul_u32_u24_e32 v28, 0xf10, v24
	v_lshlrev_b64_e32 v[16:17], 3, v[1:2]
	v_and_b32_e32 v27, 0xffff, v20
	v_mul_lo_u32 v1, s18, v23
	v_lshlrev_b64_e32 v[18:19], 3, v[18:19]
	v_lshrrev_b32_e32 v28, 16, v28
	s_delay_alu instid0(VALU_DEP_4)
	v_mad_co_u64_u32 v[20:21], null, s16, v27, 0
	v_add_co_u32 v16, vcc_lo, v22, v16
	s_wait_alu 0xfffd
	v_add_co_ci_u32_e32 v17, vcc_lo, v25, v17, vcc_lo
	v_mul_lo_u16 v25, v28, 17
	v_lshlrev_b64_e32 v[22:23], 3, v[1:2]
	v_mov_b32_e32 v1, v21
	v_add_co_u32 v18, vcc_lo, s20, v18
	s_delay_alu instid0(VALU_DEP_4) | instskip(SKIP_4) | instid1(VALU_DEP_3)
	v_sub_nc_u16 v21, v24, v25
	v_add_nc_u32_e32 v25, 0x4b0, v0
	s_wait_alu 0xfffd
	v_add_co_ci_u32_e32 v19, vcc_lo, s21, v19, vcc_lo
	v_add_co_u32 v18, vcc_lo, v18, v22
	v_mul_u32_u24_e32 v29, 0xf10, v25
	v_and_b32_e32 v24, 0xffff, v21
	v_mad_co_u64_u32 v[21:22], null, s17, v27, v[1:2]
	s_wait_alu 0xfffd
	v_add_co_ci_u32_e32 v19, vcc_lo, v19, v23, vcc_lo
	v_lshrrev_b32_e32 v31, 16, v29
	v_mad_co_u64_u32 v[22:23], null, s16, v24, 0
	v_mul_lo_u32 v1, s18, v26
	v_add_nc_u32_e32 v27, 0x528, v0
	s_delay_alu instid0(VALU_DEP_4)
	v_mul_lo_u16 v26, v31, 17
	v_lshlrev_b64_e32 v[20:21], 3, v[20:21]
	s_clause 0x3
	global_load_b64 v[12:13], v[12:13], off
	global_load_b64 v[14:15], v[14:15], off
	;; [unrolled: 1-line block ×4, first 2 shown]
	v_mad_co_u64_u32 v[23:24], null, s17, v24, v[23:24]
	v_sub_nc_u16 v24, v25, v26
	v_mul_u32_u24_e32 v25, 0xf10, v27
	v_add_co_u32 v26, vcc_lo, s20, v20
	s_wait_alu 0xfffd
	v_add_co_ci_u32_e32 v29, vcc_lo, s21, v21, vcc_lo
	s_delay_alu instid0(VALU_DEP_3)
	v_lshrrev_b32_e32 v32, 16, v25
	v_lshlrev_b64_e32 v[20:21], 3, v[1:2]
	v_mul_lo_u32 v1, s18, v28
	v_and_b32_e32 v30, 0xffff, v24
	v_lshlrev_b64_e32 v[22:23], 3, v[22:23]
	v_mul_lo_u16 v28, v32, 17
	v_add_co_u32 v20, vcc_lo, v26, v20
	s_delay_alu instid0(VALU_DEP_4) | instskip(NEXT) | instid1(VALU_DEP_3)
	v_mad_co_u64_u32 v[24:25], null, s16, v30, 0
	v_sub_nc_u16 v28, v27, v28
	v_lshlrev_b64_e32 v[26:27], 3, v[1:2]
	v_mul_u32_u24_e32 v1, 0xf10, v33
	s_wait_alu 0xfffd
	v_add_co_ci_u32_e32 v21, vcc_lo, v29, v21, vcc_lo
	v_and_b32_e32 v34, 0xffff, v28
	s_delay_alu instid0(VALU_DEP_4) | instskip(SKIP_1) | instid1(VALU_DEP_3)
	v_mad_co_u64_u32 v[28:29], null, s17, v30, v[25:26]
	v_lshrrev_b32_e32 v35, 16, v1
	v_mad_co_u64_u32 v[29:30], null, s16, v34, 0
	v_add_co_u32 v1, vcc_lo, s20, v22
	s_wait_alu 0xfffd
	v_add_co_ci_u32_e32 v23, vcc_lo, s21, v23, vcc_lo
	v_mov_b32_e32 v25, v28
	v_mul_lo_u16 v28, v35, 17
	v_add_co_u32 v22, vcc_lo, v1, v26
	v_mov_b32_e32 v26, v30
	s_wait_alu 0xfffd
	v_add_co_ci_u32_e32 v23, vcc_lo, v23, v27, vcc_lo
	v_sub_nc_u16 v28, v33, v28
	v_mul_lo_u32 v1, s18, v31
	v_mad_co_u64_u32 v[26:27], null, s17, v34, v[26:27]
	v_lshlrev_b64_e32 v[24:25], 3, v[24:25]
	s_delay_alu instid0(VALU_DEP_4) | instskip(SKIP_1) | instid1(VALU_DEP_2)
	v_and_b32_e32 v33, 0xffff, v28
	v_add_nc_u32_e32 v34, 0x618, v0
	v_mad_co_u64_u32 v[27:28], null, s16, v33, 0
	s_delay_alu instid0(VALU_DEP_4)
	v_add_co_u32 v31, vcc_lo, s20, v24
	v_mov_b32_e32 v30, v26
	s_wait_alu 0xfffd
	v_add_co_ci_u32_e32 v36, vcc_lo, s21, v25, vcc_lo
	v_lshlrev_b64_e32 v[24:25], 3, v[1:2]
	v_mul_lo_u32 v1, s18, v32
	v_mov_b32_e32 v26, v28
	v_lshlrev_b64_e32 v[28:29], 3, v[29:30]
	v_mul_u32_u24_e32 v37, 0xf10, v34
	v_add_co_u32 v24, vcc_lo, v31, v24
	s_wait_alu 0xfffd
	v_add_co_ci_u32_e32 v25, vcc_lo, v36, v25, vcc_lo
	v_lshlrev_b64_e32 v[30:31], 3, v[1:2]
	v_mad_co_u64_u32 v[32:33], null, s17, v33, v[26:27]
	v_add_co_u32 v26, vcc_lo, s20, v28
	s_wait_alu 0xfffd
	v_add_co_ci_u32_e32 v28, vcc_lo, s21, v29, vcc_lo
	v_lshrrev_b32_e32 v37, 16, v37
	s_delay_alu instid0(VALU_DEP_3) | instskip(SKIP_1) | instid1(VALU_DEP_3)
	v_add_co_u32 v29, vcc_lo, v26, v30
	s_wait_alu 0xfffd
	v_add_co_ci_u32_e32 v30, vcc_lo, v28, v31, vcc_lo
	s_clause 0x3
	global_load_b64 v[20:21], v[20:21], off
	global_load_b64 v[22:23], v[22:23], off
	;; [unrolled: 1-line block ×4, first 2 shown]
	v_mul_lo_u16 v36, v37, 17
	v_mov_b32_e32 v28, v32
	s_delay_alu instid0(VALU_DEP_2) | instskip(SKIP_2) | instid1(VALU_DEP_4)
	v_sub_nc_u16 v1, v34, v36
	v_add_nc_u32_e32 v34, 0x690, v0
	v_add_nc_u32_e32 v36, 0x708, v0
	v_lshlrev_b64_e32 v[26:27], 3, v[27:28]
	s_delay_alu instid0(VALU_DEP_4) | instskip(NEXT) | instid1(VALU_DEP_4)
	v_and_b32_e32 v33, 0xffff, v1
	v_mul_u32_u24_e32 v1, 0xf10, v34
	s_delay_alu instid0(VALU_DEP_4) | instskip(NEXT) | instid1(VALU_DEP_3)
	v_mul_u32_u24_e32 v38, 0xf10, v36
	v_mad_co_u64_u32 v[31:32], null, s16, v33, 0
	s_delay_alu instid0(VALU_DEP_3) | instskip(SKIP_1) | instid1(VALU_DEP_4)
	v_lshrrev_b32_e32 v40, 16, v1
	v_mul_lo_u32 v1, s18, v35
	v_lshrrev_b32_e32 v44, 16, v38
	s_delay_alu instid0(VALU_DEP_3) | instskip(SKIP_2) | instid1(VALU_DEP_1)
	v_mul_lo_u16 v35, v40, 17
	v_mov_b32_e32 v28, v32
	s_wait_loadcnt 0x0
	v_mad_co_u64_u32 v[32:33], null, s17, v33, v[28:29]
	s_delay_alu instid0(VALU_DEP_3)
	v_sub_nc_u16 v28, v34, v35
	v_mul_u32_u24_e32 v33, 0xf10, v39
	v_add_co_u32 v35, vcc_lo, s20, v26
	s_wait_alu 0xfffd
	v_add_co_ci_u32_e32 v38, vcc_lo, s21, v27, vcc_lo
	v_lshlrev_b64_e32 v[26:27], 3, v[1:2]
	v_and_b32_e32 v41, 0xffff, v28
	v_mul_lo_u16 v1, v44, 17
	v_lshrrev_b32_e32 v45, 16, v33
	v_lshlrev_b64_e32 v[31:32], 3, v[31:32]
	s_delay_alu instid0(VALU_DEP_4) | instskip(NEXT) | instid1(VALU_DEP_4)
	v_mad_co_u64_u32 v[33:34], null, s16, v41, 0
	v_sub_nc_u16 v28, v36, v1
	s_delay_alu instid0(VALU_DEP_4) | instskip(SKIP_3) | instid1(VALU_DEP_3)
	v_mul_lo_u16 v1, v45, 17
	v_add_co_u32 v26, vcc_lo, v35, v26
	s_wait_alu 0xfffd
	v_add_co_ci_u32_e32 v27, vcc_lo, v38, v27, vcc_lo
	v_sub_nc_u16 v35, v39, v1
	v_and_b32_e32 v42, 0xffff, v28
	v_mov_b32_e32 v28, v34
	v_mul_lo_u32 v1, s18, v37
	s_delay_alu instid0(VALU_DEP_4) | instskip(NEXT) | instid1(VALU_DEP_4)
	v_and_b32_e32 v43, 0xffff, v35
	v_mad_co_u64_u32 v[35:36], null, s16, v42, 0
	s_delay_alu instid0(VALU_DEP_4) | instskip(NEXT) | instid1(VALU_DEP_3)
	v_mad_co_u64_u32 v[37:38], null, s17, v41, v[28:29]
	v_mad_co_u64_u32 v[38:39], null, s16, v43, 0
	v_add_co_u32 v41, vcc_lo, s20, v31
	s_delay_alu instid0(VALU_DEP_4)
	v_mov_b32_e32 v28, v36
	s_wait_alu 0xfffd
	v_add_co_ci_u32_e32 v46, vcc_lo, s21, v32, vcc_lo
	v_mov_b32_e32 v34, v37
	v_lshlrev_b64_e32 v[31:32], 3, v[1:2]
	v_mul_lo_u32 v1, s18, v40
	v_mad_co_u64_u32 v[36:37], null, s17, v42, v[28:29]
	v_mov_b32_e32 v28, v39
	v_lshlrev_b64_e32 v[33:34], 3, v[33:34]
	v_add_co_u32 v31, vcc_lo, v41, v31
	s_wait_alu 0xfffd
	v_add_co_ci_u32_e32 v32, vcc_lo, v46, v32, vcc_lo
	v_mad_co_u64_u32 v[42:43], null, s17, v43, v[28:29]
	v_lshlrev_b64_e32 v[40:41], 3, v[1:2]
	v_mul_lo_u32 v1, s18, v44
	v_add_co_u32 v28, vcc_lo, s20, v33
	s_wait_alu 0xfffd
	v_add_co_ci_u32_e32 v37, vcc_lo, s21, v34, vcc_lo
	v_mov_b32_e32 v39, v42
	v_lshlrev_b64_e32 v[33:34], 3, v[35:36]
	v_add_co_u32 v35, vcc_lo, v28, v40
	s_wait_alu 0xfffd
	v_add_co_ci_u32_e32 v36, vcc_lo, v37, v41, vcc_lo
	v_lshlrev_b64_e32 v[40:41], 3, v[1:2]
	v_mul_lo_u32 v1, s18, v45
	v_lshlrev_b64_e32 v[37:38], 3, v[38:39]
	v_add_co_u32 v28, vcc_lo, s20, v33
	s_wait_alu 0xfffd
	v_add_co_ci_u32_e32 v34, vcc_lo, s21, v34, vcc_lo
	s_delay_alu instid0(VALU_DEP_3)
	v_add_co_u32 v37, vcc_lo, s20, v37
	v_lshlrev_b64_e32 v[1:2], 3, v[1:2]
	s_wait_alu 0xfffd
	v_add_co_ci_u32_e32 v38, vcc_lo, s21, v38, vcc_lo
	v_add_co_u32 v33, vcc_lo, v28, v40
	s_wait_alu 0xfffd
	v_add_co_ci_u32_e32 v34, vcc_lo, v34, v41, vcc_lo
	v_add_co_u32 v1, vcc_lo, v37, v1
	s_wait_alu 0xfffd
	v_add_co_ci_u32_e32 v2, vcc_lo, v38, v2, vcc_lo
	s_clause 0x4
	global_load_b64 v[26:27], v[26:27], off
	global_load_b64 v[31:32], v[31:32], off
	;; [unrolled: 1-line block ×5, first 2 shown]
	v_add_nc_u32_e32 v28, 0x400, v3
	v_add_nc_u32_e32 v37, 0xc00, v3
	ds_store_2addr_b64 v3, v[6:7], v[4:5] offset1:120
	ds_store_2addr_b64 v28, v[8:9], v[10:11] offset0:112 offset1:232
	ds_store_2addr_b64 v37, v[12:13], v[14:15] offset0:96 offset1:216
	v_add_nc_u32_e32 v4, 0x1400, v3
	v_add_nc_u32_e32 v5, 0x1c00, v3
	;; [unrolled: 1-line block ×5, first 2 shown]
	ds_store_2addr_b64 v4, v[16:17], v[18:19] offset0:80 offset1:200
	ds_store_2addr_b64 v5, v[20:21], v[22:23] offset0:64 offset1:184
	ds_store_2addr_b64 v6, v[24:25], v[29:30] offset0:48 offset1:168
	s_wait_loadcnt 0x3
	ds_store_2addr_b64 v7, v[26:27], v[31:32] offset0:32 offset1:152
	s_wait_loadcnt 0x1
	ds_store_2addr_b64 v8, v[35:36], v[33:34] offset0:16 offset1:136
	s_wait_loadcnt 0x0
	ds_store_b64 v3, v[1:2] offset:15360
.LBB0_6:
	v_add_nc_u32_e32 v1, s8, v0
	global_wb scope:SCOPE_SE
	s_wait_dscnt 0x0
	s_barrier_signal -1
	s_barrier_wait -1
	global_inv scope:SCOPE_SE
	v_mul_hi_u32 v2, 0x88888889, v1
	s_mov_b32 s7, 0
	s_delay_alu instid0(VALU_DEP_1) | instskip(NEXT) | instid1(VALU_DEP_1)
	v_lshrrev_b32_e32 v2, 6, v2
	v_mul_lo_u32 v2, 0x78, v2
	s_delay_alu instid0(VALU_DEP_1) | instskip(NEXT) | instid1(VALU_DEP_1)
	v_sub_nc_u32_e32 v1, v1, v2
	v_mad_u32_u24 v23, 0x88, v1, 0
	ds_load_2addr_b64 v[24:27], v23 offset1:1
	ds_load_b64 v[21:22], v23 offset:128
	ds_load_2addr_b64 v[28:31], v23 offset0:2 offset1:3
	ds_load_2addr_b64 v[32:35], v23 offset0:14 offset1:15
	;; [unrolled: 1-line block ×7, first 2 shown]
	global_wb scope:SCOPE_SE
	s_wait_dscnt 0x0
	s_barrier_signal -1
	s_barrier_wait -1
	global_inv scope:SCOPE_SE
	v_dual_add_f32 v36, v24, v26 :: v_dual_add_f32 v37, v25, v27
	v_dual_add_f32 v38, v21, v26 :: v_dual_add_f32 v39, v22, v27
	v_dual_sub_f32 v27, v27, v22 :: v_dual_sub_f32 v40, v29, v35
	v_sub_f32_e32 v26, v26, v21
	s_delay_alu instid0(VALU_DEP_4) | instskip(NEXT) | instid1(VALU_DEP_3)
	v_dual_add_f32 v36, v36, v28 :: v_dual_add_f32 v37, v37, v29
	v_mul_f32_e32 v41, 0xbeb8f4ab, v27
	v_mul_f32_e32 v44, 0x3f3d2fb0, v39
	;; [unrolled: 1-line block ×3, first 2 shown]
	s_delay_alu instid0(VALU_DEP_4) | instskip(NEXT) | instid1(VALU_DEP_4)
	v_add_f32_e32 v36, v36, v30
	v_dual_mul_f32 v42, 0x3f6eb680, v39 :: v_dual_fmamk_f32 v55, v38, 0x3f6eb680, v41
	v_add_f32_e32 v37, v37, v31
	s_delay_alu instid0(VALU_DEP_3) | instskip(NEXT) | instid1(VALU_DEP_3)
	v_dual_mul_f32 v51, 0xbf4c4adb, v27 :: v_dual_add_f32 v36, v36, v17
	v_fmamk_f32 v56, v26, 0x3eb8f4ab, v42
	s_delay_alu instid0(VALU_DEP_3) | instskip(SKIP_3) | instid1(VALU_DEP_4)
	v_dual_mul_f32 v54, 0xbf59a7d5, v39 :: v_dual_add_f32 v37, v37, v18
	v_fmac_f32_e32 v42, 0xbeb8f4ab, v26
	v_mul_f32_e32 v53, 0xbf06c442, v27
	v_mul_f32_e32 v43, 0xbf2c7751, v27
	v_dual_mul_f32 v46, 0x3ee437d1, v39 :: v_dual_add_f32 v37, v37, v20
	v_fmamk_f32 v58, v26, 0x3f2c7751, v44
	v_mul_f32_e32 v45, 0xbf65296c, v27
	v_mul_f32_e32 v47, 0xbf7ee86f, v27
	s_delay_alu instid0(VALU_DEP_4)
	v_dual_mul_f32 v50, 0xbe8c1d8e, v39 :: v_dual_add_f32 v37, v37, v6
	v_fmamk_f32 v62, v26, 0x3f7ee86f, v48
	v_add_f32_e32 v36, v36, v19
	v_mul_f32_e32 v49, 0xbf763a35, v27
	v_dual_mul_f32 v52, 0xbf1a4643, v39 :: v_dual_fmamk_f32 v65, v38, 0xbf1a4643, v51
	v_dual_add_f32 v37, v37, v8 :: v_dual_fmamk_f32 v68, v26, 0x3f06c442, v54
	v_fmac_f32_e32 v54, 0xbf06c442, v26
	v_fmamk_f32 v67, v38, 0xbf59a7d5, v53
	v_dual_mul_f32 v27, 0xbe3c28d5, v27 :: v_dual_add_f32 v36, v36, v5
	v_dual_mul_f32 v39, 0xbf7ba420, v39 :: v_dual_add_f32 v56, v25, v56
	v_add_f32_e32 v37, v37, v2
	s_delay_alu instid0(VALU_DEP_3) | instskip(NEXT) | instid1(VALU_DEP_3)
	v_dual_fmamk_f32 v69, v38, 0xbf7ba420, v27 :: v_dual_add_f32 v36, v36, v7
	v_fmamk_f32 v70, v26, 0x3e3c28d5, v39
	v_fma_f32 v41, 0x3f6eb680, v38, -v41
	s_delay_alu instid0(VALU_DEP_4) | instskip(NEXT) | instid1(VALU_DEP_4)
	v_dual_add_f32 v37, v37, v4 :: v_dual_fmac_f32 v44, 0xbf2c7751, v26
	v_dual_add_f32 v36, v36, v1 :: v_dual_fmamk_f32 v57, v38, 0x3f3d2fb0, v43
	v_fma_f32 v43, 0x3f3d2fb0, v38, -v43
	s_delay_alu instid0(VALU_DEP_3) | instskip(SKIP_1) | instid1(VALU_DEP_4)
	v_dual_add_f32 v37, v37, v10 :: v_dual_fmamk_f32 v60, v26, 0x3f65296c, v46
	v_add_f32_e32 v55, v24, v55
	v_add_f32_e32 v36, v36, v3
	s_delay_alu instid0(VALU_DEP_3) | instskip(SKIP_2) | instid1(VALU_DEP_3)
	v_dual_fmac_f32 v46, 0xbf65296c, v26 :: v_dual_add_f32 v37, v37, v12
	v_fmac_f32_e32 v48, 0xbf7ee86f, v26
	v_dual_fmamk_f32 v64, v26, 0x3f763a35, v50 :: v_dual_add_f32 v41, v24, v41
	v_dual_add_f32 v36, v36, v9 :: v_dual_add_f32 v37, v37, v14
	v_fmac_f32_e32 v50, 0xbf763a35, v26
	v_dual_fmamk_f32 v66, v26, 0x3f4c4adb, v52 :: v_dual_add_f32 v57, v24, v57
	s_delay_alu instid0(VALU_DEP_3) | instskip(SKIP_2) | instid1(VALU_DEP_3)
	v_dual_add_f32 v36, v36, v11 :: v_dual_add_f32 v37, v37, v16
	v_dual_fmac_f32 v52, 0xbf4c4adb, v26 :: v_dual_add_f32 v43, v24, v43
	v_dual_add_f32 v29, v35, v29 :: v_dual_add_f32 v54, v25, v54
	v_add_f32_e32 v37, v37, v33
	s_delay_alu instid0(VALU_DEP_4) | instskip(SKIP_2) | instid1(VALU_DEP_4)
	v_dual_add_f32 v36, v36, v13 :: v_dual_fmac_f32 v39, 0xbe3c28d5, v26
	v_fmamk_f32 v59, v38, 0x3ee437d1, v45
	v_fma_f32 v45, 0x3ee437d1, v38, -v45
	v_add_f32_e32 v37, v37, v35
	s_delay_alu instid0(VALU_DEP_4) | instskip(SKIP_2) | instid1(VALU_DEP_3)
	v_dual_add_f32 v36, v36, v15 :: v_dual_add_f32 v35, v34, v28
	v_fmamk_f32 v61, v38, 0x3dbcf732, v47
	v_fma_f32 v47, 0x3dbcf732, v38, -v47
	v_dual_fmamk_f32 v63, v38, 0xbe8c1d8e, v49 :: v_dual_add_f32 v36, v36, v32
	v_fma_f32 v49, 0xbe8c1d8e, v38, -v49
	v_fma_f32 v51, 0xbf1a4643, v38, -v51
	;; [unrolled: 1-line block ×3, first 2 shown]
	v_dual_add_f32 v42, v25, v42 :: v_dual_add_f32 v59, v24, v59
	v_add_f32_e32 v36, v36, v34
	v_add_f32_e32 v68, v25, v68
	v_dual_add_f32 v58, v25, v58 :: v_dual_add_f32 v45, v24, v45
	v_dual_add_f32 v44, v25, v44 :: v_dual_add_f32 v61, v24, v61
	s_delay_alu instid0(VALU_DEP_4)
	v_dual_add_f32 v21, v36, v21 :: v_dual_mul_f32 v36, 0xbf2c7751, v40
	v_dual_add_f32 v60, v25, v60 :: v_dual_add_f32 v47, v24, v47
	v_dual_add_f32 v46, v25, v46 :: v_dual_add_f32 v63, v24, v63
	;; [unrolled: 1-line block ×8, first 2 shown]
	v_fma_f32 v27, 0xbf7ba420, v38, -v27
	v_sub_f32_e32 v26, v28, v34
	v_mul_f32_e32 v28, 0x3f3d2fb0, v29
	v_add_f32_e32 v34, v25, v70
	v_add_f32_e32 v25, v25, v39
	v_dual_add_f32 v22, v37, v22 :: v_dual_fmamk_f32 v37, v35, 0x3f3d2fb0, v36
	v_mul_f32_e32 v38, 0xbf7ee86f, v40
	v_add_f32_e32 v24, v24, v27
	v_fma_f32 v36, 0x3f3d2fb0, v35, -v36
	s_delay_alu instid0(VALU_DEP_4) | instskip(NEXT) | instid1(VALU_DEP_4)
	v_add_f32_e32 v37, v37, v55
	v_fmamk_f32 v39, v35, 0x3dbcf732, v38
	s_delay_alu instid0(VALU_DEP_3) | instskip(SKIP_1) | instid1(VALU_DEP_3)
	v_dual_fmamk_f32 v27, v26, 0x3f2c7751, v28 :: v_dual_add_f32 v36, v36, v41
	v_mul_f32_e32 v41, 0xbf4c4adb, v40
	v_add_f32_e32 v39, v39, v57
	s_delay_alu instid0(VALU_DEP_3) | instskip(SKIP_3) | instid1(VALU_DEP_4)
	v_dual_add_f32 v27, v27, v56 :: v_dual_fmac_f32 v28, 0xbf2c7751, v26
	v_mul_f32_e32 v55, 0x3dbcf732, v29
	v_fma_f32 v38, 0x3dbcf732, v35, -v38
	v_dual_fmamk_f32 v56, v35, 0xbf1a4643, v41 :: v_dual_mul_f32 v57, 0xbf1a4643, v29
	v_add_f32_e32 v28, v28, v42
	s_delay_alu instid0(VALU_DEP_4) | instskip(NEXT) | instid1(VALU_DEP_4)
	v_fmamk_f32 v42, v26, 0x3f7ee86f, v55
	v_dual_fmac_f32 v55, 0xbf7ee86f, v26 :: v_dual_add_f32 v38, v38, v43
	v_fma_f32 v41, 0xbf1a4643, v35, -v41
	s_delay_alu instid0(VALU_DEP_2) | instskip(SKIP_1) | instid1(VALU_DEP_3)
	v_dual_add_f32 v43, v55, v44 :: v_dual_add_f32 v44, v56, v59
	v_fmamk_f32 v55, v26, 0x3f4c4adb, v57
	v_dual_mul_f32 v56, 0xbe3c28d5, v40 :: v_dual_add_f32 v41, v41, v45
	v_fmac_f32_e32 v57, 0xbf4c4adb, v26
	s_delay_alu instid0(VALU_DEP_3) | instskip(NEXT) | instid1(VALU_DEP_3)
	v_dual_add_f32 v55, v55, v60 :: v_dual_add_f32 v42, v42, v58
	v_dual_fmamk_f32 v59, v35, 0xbf7ba420, v56 :: v_dual_mul_f32 v58, 0xbf7ba420, v29
	s_delay_alu instid0(VALU_DEP_3) | instskip(SKIP_1) | instid1(VALU_DEP_3)
	v_add_f32_e32 v45, v57, v46
	v_fma_f32 v56, 0xbf7ba420, v35, -v56
	v_dual_add_f32 v59, v59, v61 :: v_dual_fmamk_f32 v46, v26, 0x3e3c28d5, v58
	v_mul_f32_e32 v57, 0x3f06c442, v40
	s_delay_alu instid0(VALU_DEP_3) | instskip(NEXT) | instid1(VALU_DEP_3)
	v_dual_fmac_f32 v58, 0xbe3c28d5, v26 :: v_dual_add_f32 v47, v56, v47
	v_dual_mul_f32 v61, 0xbf59a7d5, v29 :: v_dual_add_f32 v46, v46, v62
	s_delay_alu instid0(VALU_DEP_3) | instskip(SKIP_3) | instid1(VALU_DEP_4)
	v_fmamk_f32 v60, v35, 0xbf59a7d5, v57
	v_fma_f32 v57, 0xbf59a7d5, v35, -v57
	v_mul_f32_e32 v56, 0x3f763a35, v40
	v_add_f32_e32 v48, v58, v48
	v_add_f32_e32 v58, v60, v63
	v_fmamk_f32 v60, v26, 0xbf06c442, v61
	v_fmac_f32_e32 v61, 0x3f06c442, v26
	v_mul_f32_e32 v63, 0xbe8c1d8e, v29
	v_dual_add_f32 v49, v57, v49 :: v_dual_fmamk_f32 v62, v35, 0xbe8c1d8e, v56
	v_fma_f32 v56, 0xbe8c1d8e, v35, -v56
	s_delay_alu instid0(VALU_DEP_3) | instskip(NEXT) | instid1(VALU_DEP_3)
	v_dual_add_f32 v50, v61, v50 :: v_dual_fmamk_f32 v61, v26, 0xbf763a35, v63
	v_dual_add_f32 v57, v62, v65 :: v_dual_mul_f32 v62, 0x3f65296c, v40
	s_delay_alu instid0(VALU_DEP_3) | instskip(NEXT) | instid1(VALU_DEP_3)
	v_add_f32_e32 v51, v56, v51
	v_dual_add_f32 v61, v61, v66 :: v_dual_add_f32 v60, v60, v64
	s_delay_alu instid0(VALU_DEP_3) | instskip(SKIP_3) | instid1(VALU_DEP_4)
	v_dual_mul_f32 v64, 0x3ee437d1, v29 :: v_dual_fmamk_f32 v65, v35, 0x3ee437d1, v62
	v_fma_f32 v62, 0x3ee437d1, v35, -v62
	v_mul_f32_e32 v40, 0x3eb8f4ab, v40
	v_mul_f32_e32 v29, 0x3f6eb680, v29
	v_fmamk_f32 v56, v26, 0xbf65296c, v64
	v_fmac_f32_e32 v63, 0x3f763a35, v26
	v_dual_fmac_f32 v64, 0x3f65296c, v26 :: v_dual_add_f32 v53, v62, v53
	v_sub_f32_e32 v62, v31, v33
	s_delay_alu instid0(VALU_DEP_4) | instskip(NEXT) | instid1(VALU_DEP_4)
	v_add_f32_e32 v56, v56, v68
	v_dual_add_f32 v52, v63, v52 :: v_dual_add_f32 v63, v65, v67
	v_add_f32_e32 v31, v33, v31
	v_dual_fmamk_f32 v65, v35, 0x3f6eb680, v40 :: v_dual_add_f32 v54, v64, v54
	v_fma_f32 v33, 0x3f6eb680, v35, -v40
	s_delay_alu instid0(VALU_DEP_3) | instskip(NEXT) | instid1(VALU_DEP_3)
	v_mul_f32_e32 v40, 0xbf7ba420, v31
	v_dual_add_f32 v64, v65, v69 :: v_dual_fmamk_f32 v65, v26, 0xbeb8f4ab, v29
	v_mul_f32_e32 v67, 0xbf65296c, v62
	v_dual_fmac_f32 v29, 0x3eb8f4ab, v26 :: v_dual_sub_f32 v26, v30, v32
	v_add_f32_e32 v66, v32, v30
	s_delay_alu instid0(VALU_DEP_4) | instskip(SKIP_1) | instid1(VALU_DEP_4)
	v_add_f32_e32 v34, v65, v34
	v_dual_add_f32 v24, v33, v24 :: v_dual_mul_f32 v33, 0xbf4c4adb, v62
	v_add_f32_e32 v25, v29, v25
	s_delay_alu instid0(VALU_DEP_4) | instskip(NEXT) | instid1(VALU_DEP_1)
	v_fma_f32 v35, 0x3ee437d1, v66, -v67
	v_dual_fmamk_f32 v30, v66, 0x3ee437d1, v67 :: v_dual_add_f32 v35, v35, v36
	s_delay_alu instid0(VALU_DEP_1) | instskip(SKIP_1) | instid1(VALU_DEP_2)
	v_dual_mul_f32 v32, 0x3ee437d1, v31 :: v_dual_add_f32 v29, v30, v37
	v_mul_f32_e32 v37, 0xbf1a4643, v31
	v_fmamk_f32 v30, v26, 0x3f65296c, v32
	s_delay_alu instid0(VALU_DEP_1) | instskip(NEXT) | instid1(VALU_DEP_1)
	v_dual_fmac_f32 v32, 0xbf65296c, v26 :: v_dual_add_f32 v27, v30, v27
	v_add_f32_e32 v28, v32, v28
	s_delay_alu instid0(VALU_DEP_4) | instskip(SKIP_3) | instid1(VALU_DEP_3)
	v_fmamk_f32 v32, v26, 0x3f4c4adb, v37
	v_fmac_f32_e32 v37, 0xbf4c4adb, v26
	v_fmamk_f32 v30, v66, 0xbf1a4643, v33
	v_fma_f32 v33, 0xbf1a4643, v66, -v33
	v_add_f32_e32 v37, v37, v43
	s_delay_alu instid0(VALU_DEP_2) | instskip(SKIP_1) | instid1(VALU_DEP_1)
	v_dual_add_f32 v30, v30, v39 :: v_dual_add_f32 v33, v33, v38
	v_mul_f32_e32 v38, 0x3f763a35, v62
	v_fmamk_f32 v43, v66, 0xbe8c1d8e, v38
	v_mul_f32_e32 v36, 0x3e3c28d5, v62
	v_fma_f32 v38, 0xbe8c1d8e, v66, -v38
	s_delay_alu instid0(VALU_DEP_2) | instskip(SKIP_1) | instid1(VALU_DEP_2)
	v_fmamk_f32 v39, v66, 0xbf7ba420, v36
	v_fma_f32 v36, 0xbf7ba420, v66, -v36
	v_dual_add_f32 v39, v39, v44 :: v_dual_mul_f32 v44, 0xbe8c1d8e, v31
	v_add_f32_e32 v32, v32, v42
	s_delay_alu instid0(VALU_DEP_3) | instskip(SKIP_1) | instid1(VALU_DEP_4)
	v_dual_add_f32 v36, v36, v41 :: v_dual_add_f32 v41, v43, v59
	v_mul_f32_e32 v59, 0x3f6eb680, v31
	v_fmamk_f32 v43, v26, 0xbf763a35, v44
	v_fmamk_f32 v42, v26, 0xbe3c28d5, v40
	v_fmac_f32_e32 v40, 0x3e3c28d5, v26
	v_fmac_f32_e32 v44, 0x3f763a35, v26
	s_delay_alu instid0(VALU_DEP_4) | instskip(NEXT) | instid1(VALU_DEP_4)
	v_dual_add_f32 v38, v38, v47 :: v_dual_add_f32 v43, v43, v46
	v_add_f32_e32 v42, v42, v55
	s_delay_alu instid0(VALU_DEP_4) | instskip(NEXT) | instid1(VALU_DEP_4)
	v_dual_mul_f32 v55, 0x3f3d2fb0, v31 :: v_dual_add_f32 v40, v40, v45
	v_dual_mul_f32 v45, 0x3f2c7751, v62 :: v_dual_add_f32 v44, v44, v48
	v_mul_f32_e32 v48, 0xbeb8f4ab, v62
	s_delay_alu instid0(VALU_DEP_3) | instskip(SKIP_1) | instid1(VALU_DEP_4)
	v_fmamk_f32 v47, v26, 0xbf2c7751, v55
	v_fmac_f32_e32 v55, 0x3f2c7751, v26
	v_fmamk_f32 v46, v66, 0x3f3d2fb0, v45
	v_fma_f32 v45, 0x3f3d2fb0, v66, -v45
	s_delay_alu instid0(VALU_DEP_4) | instskip(SKIP_1) | instid1(VALU_DEP_3)
	v_dual_add_f32 v47, v47, v60 :: v_dual_mul_f32 v60, 0x3dbcf732, v31
	v_mul_f32_e32 v31, 0xbf59a7d5, v31
	v_add_f32_e32 v45, v45, v49
	v_add_f32_e32 v49, v55, v50
	;; [unrolled: 1-line block ×3, first 2 shown]
	v_fmamk_f32 v58, v66, 0x3f6eb680, v48
	s_delay_alu instid0(VALU_DEP_1) | instskip(SKIP_1) | instid1(VALU_DEP_2)
	v_dual_mul_f32 v50, 0xbf7ee86f, v62 :: v_dual_add_f32 v55, v58, v57
	v_fmamk_f32 v57, v26, 0x3eb8f4ab, v59
	v_fmamk_f32 v58, v66, 0x3dbcf732, v50
	v_fma_f32 v50, 0x3dbcf732, v66, -v50
	v_fmac_f32_e32 v59, 0xbeb8f4ab, v26
	s_delay_alu instid0(VALU_DEP_4) | instskip(SKIP_3) | instid1(VALU_DEP_3)
	v_add_f32_e32 v57, v57, v61
	v_fma_f32 v48, 0x3f6eb680, v66, -v48
	v_fmamk_f32 v61, v26, 0x3f06c442, v31
	v_dual_add_f32 v50, v50, v53 :: v_dual_fmac_f32 v31, 0xbf06c442, v26
	v_dual_add_f32 v48, v48, v51 :: v_dual_add_f32 v51, v59, v52
	v_dual_add_f32 v52, v58, v63 :: v_dual_mul_f32 v59, 0xbf06c442, v62
	s_delay_alu instid0(VALU_DEP_3) | instskip(SKIP_1) | instid1(VALU_DEP_1)
	v_dual_add_f32 v25, v31, v25 :: v_dual_fmamk_f32 v58, v26, 0x3f7ee86f, v60
	v_fmac_f32_e32 v60, 0xbf7ee86f, v26
	v_dual_add_f32 v56, v58, v56 :: v_dual_add_f32 v53, v60, v54
	v_add_f32_e32 v60, v15, v17
	v_sub_f32_e32 v54, v18, v16
	v_add_f32_e32 v16, v16, v18
	v_fmamk_f32 v58, v66, 0xbf59a7d5, v59
	v_fma_f32 v59, 0xbf59a7d5, v66, -v59
	s_delay_alu instid0(VALU_DEP_4) | instskip(NEXT) | instid1(VALU_DEP_4)
	v_dual_sub_f32 v15, v17, v15 :: v_dual_mul_f32 v18, 0xbf7ee86f, v54
	v_mul_f32_e32 v17, 0x3dbcf732, v16
	s_delay_alu instid0(VALU_DEP_3) | instskip(NEXT) | instid1(VALU_DEP_3)
	v_dual_mul_f32 v31, 0xbe3c28d5, v54 :: v_dual_add_f32 v24, v59, v24
	v_fmamk_f32 v26, v60, 0x3dbcf732, v18
	s_delay_alu instid0(VALU_DEP_3) | instskip(SKIP_1) | instid1(VALU_DEP_2)
	v_fmamk_f32 v59, v15, 0x3f7ee86f, v17
	v_fmac_f32_e32 v17, 0xbf7ee86f, v15
	v_dual_add_f32 v27, v59, v27 :: v_dual_add_f32 v58, v58, v64
	s_delay_alu instid0(VALU_DEP_2) | instskip(SKIP_3) | instid1(VALU_DEP_1)
	v_add_f32_e32 v17, v17, v28
	v_dual_add_f32 v34, v61, v34 :: v_dual_mul_f32 v59, 0xbf7ba420, v16
	v_dual_add_f32 v26, v26, v29 :: v_dual_fmamk_f32 v29, v60, 0xbf7ba420, v31
	v_fma_f32 v31, 0xbf7ba420, v60, -v31
	v_dual_add_f32 v28, v29, v30 :: v_dual_add_f32 v31, v31, v33
	v_fma_f32 v18, 0x3dbcf732, v60, -v18
	s_delay_alu instid0(VALU_DEP_1) | instskip(SKIP_1) | instid1(VALU_DEP_2)
	v_dual_mul_f32 v29, 0x3f763a35, v54 :: v_dual_add_f32 v18, v18, v35
	v_mul_f32_e32 v35, 0xbe8c1d8e, v16
	v_fmamk_f32 v61, v60, 0xbe8c1d8e, v29
	v_fma_f32 v29, 0xbe8c1d8e, v60, -v29
	s_delay_alu instid0(VALU_DEP_3) | instskip(SKIP_4) | instid1(VALU_DEP_4)
	v_fmamk_f32 v33, v15, 0xbf763a35, v35
	v_fmamk_f32 v30, v15, 0x3e3c28d5, v59
	v_fmac_f32_e32 v59, 0xbe3c28d5, v15
	v_fmac_f32_e32 v35, 0x3f763a35, v15
	v_dual_add_f32 v29, v29, v36 :: v_dual_mul_f32 v36, 0xbf65296c, v54
	v_dual_add_f32 v33, v33, v42 :: v_dual_add_f32 v30, v30, v32
	s_delay_alu instid0(VALU_DEP_4) | instskip(SKIP_1) | instid1(VALU_DEP_1)
	v_dual_add_f32 v32, v59, v37 :: v_dual_add_f32 v37, v61, v39
	v_mul_f32_e32 v39, 0x3eb8f4ab, v54
	v_dual_mul_f32 v42, 0x3f6eb680, v16 :: v_dual_fmamk_f32 v59, v60, 0x3f6eb680, v39
	v_add_f32_e32 v35, v35, v40
	s_delay_alu instid0(VALU_DEP_2) | instskip(SKIP_1) | instid1(VALU_DEP_4)
	v_fmamk_f32 v40, v15, 0xbeb8f4ab, v42
	v_fma_f32 v39, 0x3f6eb680, v60, -v39
	v_dual_fmac_f32 v42, 0x3eb8f4ab, v15 :: v_dual_add_f32 v41, v59, v41
	v_fmamk_f32 v59, v60, 0x3ee437d1, v36
	v_fma_f32 v36, 0x3ee437d1, v60, -v36
	s_delay_alu instid0(VALU_DEP_3) | instskip(SKIP_1) | instid1(VALU_DEP_4)
	v_dual_add_f32 v38, v39, v38 :: v_dual_add_f32 v39, v42, v44
	v_dual_add_f32 v40, v40, v43 :: v_dual_mul_f32 v43, 0x3ee437d1, v16
	v_add_f32_e32 v42, v59, v46
	v_mul_f32_e32 v44, 0xbf06c442, v54
	v_add_f32_e32 v36, v36, v45
	s_delay_alu instid0(VALU_DEP_2) | instskip(SKIP_4) | instid1(VALU_DEP_3)
	v_fmamk_f32 v61, v60, 0xbf59a7d5, v44
	v_fmamk_f32 v46, v15, 0x3f65296c, v43
	v_mul_f32_e32 v59, 0xbf59a7d5, v16
	v_fmac_f32_e32 v43, 0xbf65296c, v15
	v_fma_f32 v44, 0xbf59a7d5, v60, -v44
	v_dual_add_f32 v46, v46, v47 :: v_dual_fmamk_f32 v45, v15, 0x3f06c442, v59
	v_fmac_f32_e32 v59, 0xbf06c442, v15
	s_delay_alu instid0(VALU_DEP_3) | instskip(NEXT) | instid1(VALU_DEP_2)
	v_dual_add_f32 v43, v43, v49 :: v_dual_add_f32 v44, v44, v48
	v_dual_mul_f32 v49, 0x3f4c4adb, v54 :: v_dual_add_f32 v48, v59, v51
	v_add_f32_e32 v47, v61, v55
	v_mul_f32_e32 v55, 0xbf1a4643, v16
	v_dual_add_f32 v45, v45, v57 :: v_dual_mul_f32 v16, 0x3f3d2fb0, v16
	v_mul_f32_e32 v51, 0x3f2c7751, v54
	s_delay_alu instid0(VALU_DEP_3) | instskip(NEXT) | instid1(VALU_DEP_1)
	v_fmamk_f32 v54, v15, 0xbf4c4adb, v55
	v_dual_fmac_f32 v55, 0x3f4c4adb, v15 :: v_dual_add_f32 v54, v54, v56
	v_fmamk_f32 v57, v60, 0xbf1a4643, v49
	v_fma_f32 v49, 0xbf1a4643, v60, -v49
	s_delay_alu instid0(VALU_DEP_1)
	v_dual_add_f32 v49, v49, v50 :: v_dual_add_f32 v50, v55, v53
	v_dual_sub_f32 v55, v20, v14 :: v_dual_fmamk_f32 v56, v15, 0xbf2c7751, v16
	v_add_f32_e32 v14, v14, v20
	v_add_f32_e32 v52, v57, v52
	v_fmac_f32_e32 v16, 0x3f2c7751, v15
	v_dual_fmamk_f32 v57, v60, 0x3f3d2fb0, v51 :: v_dual_add_f32 v20, v13, v19
	v_fma_f32 v51, 0x3f3d2fb0, v60, -v51
	v_sub_f32_e32 v13, v19, v13
	v_add_f32_e32 v19, v56, v34
	s_delay_alu instid0(VALU_DEP_4) | instskip(SKIP_3) | instid1(VALU_DEP_3)
	v_add_f32_e32 v53, v57, v58
	v_dual_mul_f32 v57, 0xbf763a35, v55 :: v_dual_add_f32 v16, v16, v25
	v_add_f32_e32 v24, v51, v24
	v_mul_f32_e32 v56, 0xbf59a7d5, v14
	v_fmamk_f32 v34, v20, 0xbe8c1d8e, v57
	s_delay_alu instid0(VALU_DEP_1) | instskip(SKIP_3) | instid1(VALU_DEP_3)
	v_add_f32_e32 v26, v34, v26
	v_fma_f32 v34, 0xbe8c1d8e, v20, -v57
	v_mul_f32_e32 v51, 0x3f06c442, v55
	v_mul_f32_e32 v57, 0x3f3d2fb0, v14
	v_add_f32_e32 v18, v34, v18
	s_delay_alu instid0(VALU_DEP_3) | instskip(SKIP_1) | instid1(VALU_DEP_1)
	v_fma_f32 v34, 0xbf59a7d5, v20, -v51
	v_mul_f32_e32 v15, 0xbe8c1d8e, v14
	v_fmamk_f32 v25, v13, 0x3f763a35, v15
	s_delay_alu instid0(VALU_DEP_1) | instskip(SKIP_1) | instid1(VALU_DEP_1)
	v_add_f32_e32 v25, v25, v27
	v_fmamk_f32 v27, v20, 0xbf59a7d5, v51
	v_dual_add_f32 v27, v27, v28 :: v_dual_fmamk_f32 v28, v13, 0xbf06c442, v56
	v_fmac_f32_e32 v56, 0x3f06c442, v13
	s_delay_alu instid0(VALU_DEP_2) | instskip(SKIP_1) | instid1(VALU_DEP_3)
	v_add_f32_e32 v28, v28, v30
	v_dual_add_f32 v30, v34, v31 :: v_dual_fmac_f32 v15, 0xbf763a35, v13
	v_dual_add_f32 v31, v56, v32 :: v_dual_mul_f32 v56, 0xbe3c28d5, v55
	v_fmamk_f32 v34, v13, 0xbf2c7751, v57
	v_fmac_f32_e32 v57, 0x3f2c7751, v13
	s_delay_alu instid0(VALU_DEP_4) | instskip(SKIP_1) | instid1(VALU_DEP_4)
	v_add_f32_e32 v15, v15, v17
	v_mul_f32_e32 v17, 0x3f2c7751, v55
	v_add_f32_e32 v33, v34, v33
	s_delay_alu instid0(VALU_DEP_2) | instskip(NEXT) | instid1(VALU_DEP_1)
	v_fmamk_f32 v51, v20, 0x3f3d2fb0, v17
	v_dual_add_f32 v32, v51, v37 :: v_dual_mul_f32 v37, 0xbf65296c, v55
	s_delay_alu instid0(VALU_DEP_1) | instskip(NEXT) | instid1(VALU_DEP_1)
	v_dual_mul_f32 v51, 0x3ee437d1, v14 :: v_dual_fmamk_f32 v34, v20, 0x3ee437d1, v37
	v_add_f32_e32 v34, v34, v41
	v_fma_f32 v17, 0x3f3d2fb0, v20, -v17
	v_mul_f32_e32 v41, 0xbf7ba420, v14
	s_delay_alu instid0(VALU_DEP_2) | instskip(SKIP_3) | instid1(VALU_DEP_2)
	v_add_f32_e32 v17, v17, v29
	v_add_f32_e32 v29, v57, v35
	v_fmamk_f32 v35, v13, 0x3f65296c, v51
	v_mul_f32_e32 v57, 0x3dbcf732, v14
	v_dual_add_f32 v35, v35, v40 :: v_dual_fmamk_f32 v40, v20, 0xbf7ba420, v56
	s_delay_alu instid0(VALU_DEP_1) | instskip(SKIP_2) | instid1(VALU_DEP_2)
	v_add_f32_e32 v40, v40, v42
	v_fmamk_f32 v42, v13, 0x3e3c28d5, v41
	v_fma_f32 v37, 0x3ee437d1, v20, -v37
	v_dual_fmac_f32 v41, 0xbe3c28d5, v13 :: v_dual_add_f32 v42, v42, v46
	v_fmamk_f32 v46, v13, 0xbf7ee86f, v57
	v_fmac_f32_e32 v57, 0x3f7ee86f, v13
	s_delay_alu instid0(VALU_DEP_4) | instskip(NEXT) | instid1(VALU_DEP_4)
	v_add_f32_e32 v37, v37, v38
	v_add_f32_e32 v41, v41, v43
	s_delay_alu instid0(VALU_DEP_3) | instskip(NEXT) | instid1(VALU_DEP_1)
	v_dual_add_f32 v48, v57, v48 :: v_dual_fmac_f32 v51, 0xbf65296c, v13
	v_add_f32_e32 v38, v51, v39
	v_mul_f32_e32 v39, 0x3f7ee86f, v55
	v_fma_f32 v51, 0xbf7ba420, v20, -v56
	s_delay_alu instid0(VALU_DEP_2) | instskip(NEXT) | instid1(VALU_DEP_2)
	v_fmamk_f32 v56, v20, 0x3dbcf732, v39
	v_add_f32_e32 v36, v51, v36
	v_fma_f32 v39, 0x3dbcf732, v20, -v39
	v_mul_f32_e32 v51, 0x3f6eb680, v14
	s_delay_alu instid0(VALU_DEP_4) | instskip(SKIP_1) | instid1(VALU_DEP_4)
	v_dual_mul_f32 v14, 0xbf1a4643, v14 :: v_dual_add_f32 v43, v56, v47
	v_mul_f32_e32 v47, 0xbeb8f4ab, v55
	v_add_f32_e32 v39, v39, v44
	s_delay_alu instid0(VALU_DEP_4) | instskip(SKIP_1) | instid1(VALU_DEP_4)
	v_dual_add_f32 v45, v46, v45 :: v_dual_fmamk_f32 v44, v13, 0x3eb8f4ab, v51
	v_fmac_f32_e32 v51, 0xbeb8f4ab, v13
	v_fmamk_f32 v46, v20, 0x3f6eb680, v47
	v_fma_f32 v47, 0x3f6eb680, v20, -v47
	s_delay_alu instid0(VALU_DEP_4) | instskip(NEXT) | instid1(VALU_DEP_4)
	v_add_f32_e32 v44, v44, v54
	v_add_f32_e32 v50, v51, v50
	s_delay_alu instid0(VALU_DEP_3) | instskip(SKIP_2) | instid1(VALU_DEP_2)
	v_dual_add_f32 v46, v46, v52 :: v_dual_add_f32 v47, v47, v49
	v_sub_f32_e32 v49, v6, v12
	v_dual_mul_f32 v55, 0xbf4c4adb, v55 :: v_dual_add_f32 v6, v12, v6
	v_mul_f32_e32 v54, 0xbf4c4adb, v49
	s_delay_alu instid0(VALU_DEP_2) | instskip(SKIP_1) | instid1(VALU_DEP_2)
	v_fmamk_f32 v52, v20, 0xbf1a4643, v55
	v_fma_f32 v12, 0xbf1a4643, v20, -v55
	v_add_f32_e32 v51, v52, v53
	v_dual_add_f32 v53, v11, v5 :: v_dual_fmamk_f32 v52, v13, 0x3f4c4adb, v14
	v_dual_fmac_f32 v14, 0xbf4c4adb, v13 :: v_dual_sub_f32 v5, v5, v11
	v_mul_f32_e32 v20, 0x3f763a35, v49
	s_delay_alu instid0(VALU_DEP_3) | instskip(NEXT) | instid1(VALU_DEP_3)
	v_fmamk_f32 v11, v53, 0xbf1a4643, v54
	v_dual_mul_f32 v13, 0xbf1a4643, v6 :: v_dual_add_f32 v14, v14, v16
	v_add_f32_e32 v12, v12, v24
	v_add_f32_e32 v19, v52, v19
	s_delay_alu instid0(VALU_DEP_3) | instskip(SKIP_3) | instid1(VALU_DEP_3)
	v_dual_add_f32 v11, v11, v26 :: v_dual_fmamk_f32 v16, v5, 0x3f4c4adb, v13
	v_fmac_f32_e32 v13, 0xbf4c4adb, v5
	v_mul_f32_e32 v26, 0xbe8c1d8e, v6
	v_mul_f32_e32 v52, 0xbf59a7d5, v6
	v_dual_add_f32 v16, v16, v25 :: v_dual_add_f32 v13, v13, v15
	s_delay_alu instid0(VALU_DEP_3) | instskip(NEXT) | instid1(VALU_DEP_1)
	v_fmamk_f32 v15, v5, 0xbf763a35, v26
	v_dual_fmac_f32 v26, 0x3f763a35, v5 :: v_dual_add_f32 v15, v15, v28
	v_mul_f32_e32 v28, 0x3f6eb680, v6
	v_fma_f32 v24, 0xbf1a4643, v53, -v54
	v_fmamk_f32 v25, v53, 0xbe8c1d8e, v20
	v_fma_f32 v20, 0xbe8c1d8e, v53, -v20
	s_delay_alu instid0(VALU_DEP_4) | instskip(NEXT) | instid1(VALU_DEP_4)
	v_dual_add_f32 v26, v26, v31 :: v_dual_fmamk_f32 v31, v5, 0x3eb8f4ab, v28
	v_add_f32_e32 v18, v24, v18
	s_delay_alu instid0(VALU_DEP_4) | instskip(SKIP_3) | instid1(VALU_DEP_4)
	v_dual_mul_f32 v24, 0xbeb8f4ab, v49 :: v_dual_add_f32 v25, v25, v27
	v_fmac_f32_e32 v28, 0xbeb8f4ab, v5
	v_add_f32_e32 v20, v20, v30
	v_mul_f32_e32 v30, 0xbf06c442, v49
	v_fmamk_f32 v27, v53, 0x3f6eb680, v24
	v_fma_f32 v24, 0x3f6eb680, v53, -v24
	s_delay_alu instid0(VALU_DEP_2) | instskip(NEXT) | instid1(VALU_DEP_2)
	v_dual_add_f32 v27, v27, v32 :: v_dual_fmamk_f32 v32, v53, 0xbf59a7d5, v30
	v_add_f32_e32 v17, v24, v17
	v_dual_add_f32 v24, v28, v29 :: v_dual_fmamk_f32 v29, v5, 0x3f06c442, v52
	v_fma_f32 v30, 0xbf59a7d5, v53, -v30
	s_delay_alu instid0(VALU_DEP_4) | instskip(NEXT) | instid1(VALU_DEP_3)
	v_add_f32_e32 v28, v32, v34
	v_dual_mul_f32 v32, 0x3f7ee86f, v49 :: v_dual_add_f32 v29, v29, v35
	v_add_f32_e32 v31, v31, v33
	s_delay_alu instid0(VALU_DEP_4) | instskip(NEXT) | instid1(VALU_DEP_3)
	v_dual_mul_f32 v33, 0x3dbcf732, v6 :: v_dual_add_f32 v30, v30, v37
	v_fmamk_f32 v34, v53, 0x3dbcf732, v32
	v_fma_f32 v32, 0x3dbcf732, v53, -v32
	s_delay_alu instid0(VALU_DEP_3) | instskip(SKIP_1) | instid1(VALU_DEP_4)
	v_fmamk_f32 v37, v5, 0xbf7ee86f, v33
	v_fmac_f32_e32 v52, 0xbf06c442, v5
	v_dual_fmac_f32 v33, 0x3f7ee86f, v5 :: v_dual_add_f32 v34, v34, v40
	s_delay_alu instid0(VALU_DEP_3) | instskip(NEXT) | instid1(VALU_DEP_3)
	v_dual_add_f32 v32, v32, v36 :: v_dual_add_f32 v37, v37, v42
	v_dual_add_f32 v35, v52, v38 :: v_dual_mul_f32 v38, 0xbf2c7751, v49
	s_delay_alu instid0(VALU_DEP_3) | instskip(SKIP_2) | instid1(VALU_DEP_4)
	v_dual_mul_f32 v42, 0x3f3d2fb0, v6 :: v_dual_add_f32 v33, v33, v41
	v_mul_f32_e32 v52, 0xbf7ba420, v6
	v_mul_f32_e32 v6, 0x3ee437d1, v6
	v_fmamk_f32 v40, v53, 0x3f3d2fb0, v38
	s_delay_alu instid0(VALU_DEP_4) | instskip(SKIP_4) | instid1(VALU_DEP_4)
	v_fmamk_f32 v41, v5, 0x3f2c7751, v42
	v_fma_f32 v38, 0x3f3d2fb0, v53, -v38
	v_fmac_f32_e32 v42, 0xbf2c7751, v5
	v_mul_f32_e32 v36, 0xbe3c28d5, v49
	v_add_f32_e32 v40, v40, v43
	v_add_f32_e32 v38, v38, v39
	s_delay_alu instid0(VALU_DEP_4) | instskip(NEXT) | instid1(VALU_DEP_4)
	v_add_f32_e32 v39, v42, v48
	v_dual_fmamk_f32 v43, v53, 0xbf7ba420, v36 :: v_dual_sub_f32 v48, v8, v10
	v_dual_add_f32 v8, v10, v8 :: v_dual_add_f32 v41, v41, v45
	s_delay_alu instid0(VALU_DEP_2) | instskip(SKIP_1) | instid1(VALU_DEP_4)
	v_dual_mul_f32 v45, 0x3f65296c, v49 :: v_dual_add_f32 v42, v43, v46
	v_fmamk_f32 v46, v5, 0xbf65296c, v6
	v_mul_f32_e32 v10, 0xbf06c442, v48
	v_fmac_f32_e32 v6, 0x3f65296c, v5
	v_fmamk_f32 v43, v5, 0x3e3c28d5, v52
	v_fmac_f32_e32 v52, 0xbe3c28d5, v5
	v_sub_f32_e32 v5, v7, v9
	v_add_f32_e32 v19, v46, v19
	v_add_f32_e32 v46, v9, v7
	v_dual_add_f32 v6, v6, v14 :: v_dual_add_f32 v43, v43, v44
	v_mul_f32_e32 v14, 0x3f65296c, v48
	v_fmamk_f32 v44, v53, 0x3ee437d1, v45
	v_fma_f32 v45, 0x3ee437d1, v53, -v45
	v_fmamk_f32 v9, v46, 0xbf59a7d5, v10
	v_fma_f32 v36, 0xbf7ba420, v53, -v36
	s_delay_alu instid0(VALU_DEP_3) | instskip(NEXT) | instid1(VALU_DEP_3)
	v_add_f32_e32 v12, v45, v12
	v_add_f32_e32 v9, v9, v11
	v_fma_f32 v10, 0xbf59a7d5, v46, -v10
	v_mul_f32_e32 v7, 0xbf59a7d5, v8
	v_fmamk_f32 v11, v46, 0x3ee437d1, v14
	v_fma_f32 v14, 0x3ee437d1, v46, -v14
	v_add_f32_e32 v36, v36, v47
	s_delay_alu instid0(VALU_DEP_4) | instskip(NEXT) | instid1(VALU_DEP_3)
	v_dual_add_f32 v10, v10, v18 :: v_dual_fmamk_f32 v45, v5, 0x3f06c442, v7
	v_dual_add_f32 v47, v52, v50 :: v_dual_add_f32 v14, v14, v20
	v_dual_fmac_f32 v7, 0xbf06c442, v5 :: v_dual_add_f32 v44, v44, v51
	s_delay_alu instid0(VALU_DEP_1) | instskip(SKIP_1) | instid1(VALU_DEP_1)
	v_dual_add_f32 v16, v45, v16 :: v_dual_add_f32 v7, v7, v13
	v_mul_f32_e32 v13, 0xbf7ee86f, v48
	v_fmamk_f32 v49, v46, 0x3dbcf732, v13
	v_mul_f32_e32 v45, 0x3ee437d1, v8
	s_delay_alu instid0(VALU_DEP_1) | instskip(SKIP_1) | instid1(VALU_DEP_1)
	v_fmamk_f32 v18, v5, 0xbf65296c, v45
	v_fmac_f32_e32 v45, 0x3f65296c, v5
	v_dual_add_f32 v15, v18, v15 :: v_dual_add_f32 v18, v45, v26
	v_add_f32_e32 v11, v11, v25
	v_dual_mul_f32 v25, 0x3dbcf732, v8 :: v_dual_add_f32 v26, v49, v27
	v_mul_f32_e32 v27, 0x3f4c4adb, v48
	s_delay_alu instid0(VALU_DEP_2) | instskip(SKIP_1) | instid1(VALU_DEP_3)
	v_fmamk_f32 v20, v5, 0x3f7ee86f, v25
	v_fmac_f32_e32 v25, 0xbf7ee86f, v5
	v_fmamk_f32 v45, v46, 0xbf1a4643, v27
	v_fma_f32 v27, 0xbf1a4643, v46, -v27
	s_delay_alu instid0(VALU_DEP_4) | instskip(SKIP_2) | instid1(VALU_DEP_4)
	v_add_f32_e32 v20, v20, v31
	v_fma_f32 v13, 0x3dbcf732, v46, -v13
	v_mul_f32_e32 v31, 0xbf1a4643, v8
	v_dual_add_f32 v28, v45, v28 :: v_dual_add_f32 v27, v27, v30
	s_delay_alu instid0(VALU_DEP_3) | instskip(SKIP_4) | instid1(VALU_DEP_3)
	v_add_f32_e32 v13, v13, v17
	v_add_f32_e32 v17, v25, v24
	v_mul_f32_e32 v24, 0xbeb8f4ab, v48
	v_fmamk_f32 v25, v5, 0xbf4c4adb, v31
	v_fmac_f32_e32 v31, 0x3f4c4adb, v5
	v_fmamk_f32 v45, v46, 0x3f6eb680, v24
	s_delay_alu instid0(VALU_DEP_3) | instskip(NEXT) | instid1(VALU_DEP_3)
	v_add_f32_e32 v25, v25, v29
	v_dual_mul_f32 v29, 0x3f6eb680, v8 :: v_dual_add_f32 v30, v31, v35
	v_fma_f32 v24, 0x3f6eb680, v46, -v24
	s_delay_alu instid0(VALU_DEP_4) | instskip(NEXT) | instid1(VALU_DEP_3)
	v_dual_add_f32 v31, v45, v34 :: v_dual_mul_f32 v34, 0xbe3c28d5, v48
	v_fmamk_f32 v35, v5, 0x3eb8f4ab, v29
	v_fmac_f32_e32 v29, 0xbeb8f4ab, v5
	v_mul_f32_e32 v45, 0xbf7ba420, v8
	s_delay_alu instid0(VALU_DEP_4) | instskip(SKIP_1) | instid1(VALU_DEP_4)
	v_dual_add_f32 v24, v24, v32 :: v_dual_fmamk_f32 v49, v46, 0xbf7ba420, v34
	v_fma_f32 v34, 0xbf7ba420, v46, -v34
	v_add_f32_e32 v29, v29, v33
	s_delay_alu instid0(VALU_DEP_4)
	v_fmamk_f32 v32, v5, 0x3e3c28d5, v45
	v_fmac_f32_e32 v45, 0xbe3c28d5, v5
	v_add_f32_e32 v33, v49, v40
	v_mul_f32_e32 v40, 0x3f3d2fb0, v8
	v_add_f32_e32 v34, v34, v38
	v_mul_f32_e32 v8, 0xbe8c1d8e, v8
	v_dual_add_f32 v38, v45, v39 :: v_dual_mul_f32 v39, 0xbf763a35, v48
	v_add_f32_e32 v35, v35, v37
	v_mul_f32_e32 v37, 0x3f2c7751, v48
	v_dual_fmamk_f32 v45, v5, 0xbf2c7751, v40 :: v_dual_add_f32 v32, v32, v41
	s_delay_alu instid0(VALU_DEP_1) | instskip(SKIP_1) | instid1(VALU_DEP_4)
	v_dual_fmac_f32 v40, 0x3f2c7751, v5 :: v_dual_add_f32 v43, v45, v43
	v_add_f32_e32 v45, v4, v2
	v_fmamk_f32 v41, v46, 0x3f3d2fb0, v37
	v_fma_f32 v37, 0x3f3d2fb0, v46, -v37
	s_delay_alu instid0(VALU_DEP_2) | instskip(NEXT) | instid1(VALU_DEP_2)
	v_dual_add_f32 v41, v41, v42 :: v_dual_fmamk_f32 v42, v46, 0xbe8c1d8e, v39
	v_dual_add_f32 v36, v37, v36 :: v_dual_add_f32 v37, v40, v47
	s_delay_alu instid0(VALU_DEP_2)
	v_dual_sub_f32 v47, v1, v3 :: v_dual_add_f32 v40, v42, v44
	v_sub_f32_e32 v42, v2, v4
	v_fmamk_f32 v44, v5, 0x3f763a35, v8
	v_fmac_f32_e32 v8, 0xbf763a35, v5
	v_fma_f32 v39, 0xbe8c1d8e, v46, -v39
	v_add_f32_e32 v46, v3, v1
	v_mul_f32_e32 v1, 0xbf7ba420, v45
	v_mul_f32_e32 v4, 0xbe3c28d5, v42
	v_add_f32_e32 v48, v8, v6
	v_mul_f32_e32 v8, 0x3eb8f4ab, v42
	s_delay_alu instid0(VALU_DEP_4) | instskip(SKIP_3) | instid1(VALU_DEP_4)
	v_dual_add_f32 v44, v44, v19 :: v_dual_fmamk_f32 v3, v47, 0x3e3c28d5, v1
	v_fmac_f32_e32 v1, 0xbe3c28d5, v47
	v_fmamk_f32 v2, v46, 0xbf7ba420, v4
	v_fma_f32 v4, 0xbf7ba420, v46, -v4
	v_dual_fmamk_f32 v6, v46, 0x3f6eb680, v8 :: v_dual_add_f32 v3, v3, v16
	s_delay_alu instid0(VALU_DEP_4) | instskip(NEXT) | instid1(VALU_DEP_4)
	v_add_f32_e32 v5, v1, v7
	v_dual_mul_f32 v1, 0xbf06c442, v42 :: v_dual_add_f32 v2, v2, v9
	s_delay_alu instid0(VALU_DEP_4) | instskip(NEXT) | instid1(VALU_DEP_4)
	v_add_f32_e32 v4, v4, v10
	v_add_f32_e32 v6, v6, v11
	v_fma_f32 v8, 0x3f6eb680, v46, -v8
	s_delay_alu instid0(VALU_DEP_4) | instskip(SKIP_3) | instid1(VALU_DEP_3)
	v_fmamk_f32 v10, v46, 0xbf59a7d5, v1
	v_mul_f32_e32 v9, 0x3f6eb680, v45
	v_dual_mul_f32 v16, 0xbf59a7d5, v45 :: v_dual_add_f32 v39, v39, v12
	v_fma_f32 v1, 0xbf59a7d5, v46, -v1
	v_dual_add_f32 v8, v8, v14 :: v_dual_fmamk_f32 v7, v47, 0xbeb8f4ab, v9
	s_delay_alu instid0(VALU_DEP_3) | instskip(SKIP_1) | instid1(VALU_DEP_4)
	v_fmamk_f32 v11, v47, 0x3f06c442, v16
	v_fmac_f32_e32 v16, 0xbf06c442, v47
	v_dual_add_f32 v12, v1, v13 :: v_dual_mul_f32 v19, 0xbf4c4adb, v42
	s_delay_alu instid0(VALU_DEP_4) | instskip(SKIP_1) | instid1(VALU_DEP_4)
	v_add_f32_e32 v7, v7, v15
	v_mul_f32_e32 v15, 0x3f2c7751, v42
	v_add_f32_e32 v13, v16, v17
	v_dual_add_f32 v11, v11, v20 :: v_dual_mul_f32 v20, 0xbf1a4643, v45
	v_add_f32_e32 v10, v10, v26
	s_delay_alu instid0(VALU_DEP_4) | instskip(SKIP_1) | instid1(VALU_DEP_2)
	v_fma_f32 v16, 0x3f3d2fb0, v46, -v15
	v_fmamk_f32 v14, v46, 0x3f3d2fb0, v15
	v_dual_add_f32 v16, v16, v27 :: v_dual_mul_f32 v27, 0x3f65296c, v42
	s_delay_alu instid0(VALU_DEP_2) | instskip(NEXT) | instid1(VALU_DEP_2)
	v_add_f32_e32 v14, v14, v28
	v_fma_f32 v28, 0x3ee437d1, v46, -v27
	v_fmac_f32_e32 v9, 0x3eb8f4ab, v47
	v_fmamk_f32 v26, v46, 0x3ee437d1, v27
	s_delay_alu instid0(VALU_DEP_3) | instskip(NEXT) | instid1(VALU_DEP_3)
	v_add_f32_e32 v28, v28, v34
	v_dual_add_f32 v9, v9, v18 :: v_dual_mul_f32 v18, 0x3f3d2fb0, v45
	v_mul_f32_e32 v34, 0x3f7ee86f, v42
	s_delay_alu instid0(VALU_DEP_4) | instskip(SKIP_1) | instid1(VALU_DEP_4)
	v_add_f32_e32 v26, v26, v33
	v_mul_f32_e32 v33, 0xbe8c1d8e, v45
	v_fmamk_f32 v1, v47, 0xbf2c7751, v18
	v_fmac_f32_e32 v18, 0x3f2c7751, v47
	s_delay_alu instid0(VALU_DEP_1) | instskip(NEXT) | instid1(VALU_DEP_3)
	v_dual_add_f32 v17, v18, v30 :: v_dual_mul_f32 v30, 0x3ee437d1, v45
	v_add_f32_e32 v15, v1, v25
	v_fmamk_f32 v1, v46, 0xbf1a4643, v19
	v_fma_f32 v25, 0xbf1a4643, v46, -v19
	s_delay_alu instid0(VALU_DEP_2) | instskip(SKIP_1) | instid1(VALU_DEP_3)
	v_dual_add_f32 v18, v1, v31 :: v_dual_fmamk_f32 v1, v47, 0x3f4c4adb, v20
	v_fmac_f32_e32 v20, 0xbf4c4adb, v47
	v_dual_add_f32 v24, v25, v24 :: v_dual_fmamk_f32 v31, v47, 0x3f763a35, v33
	v_fmac_f32_e32 v33, 0xbf763a35, v47
	s_delay_alu instid0(VALU_DEP_4) | instskip(NEXT) | instid1(VALU_DEP_4)
	v_add_f32_e32 v19, v1, v35
	v_add_f32_e32 v25, v20, v29
	v_fmamk_f32 v1, v47, 0xbf65296c, v30
	v_mul_f32_e32 v20, 0xbf763a35, v42
	v_fmac_f32_e32 v30, 0x3f65296c, v47
	v_add_f32_e32 v31, v31, v43
	v_add_f32_e32 v33, v33, v37
	;; [unrolled: 1-line block ×3, first 2 shown]
	v_fmamk_f32 v1, v46, 0xbe8c1d8e, v20
	v_fma_f32 v20, 0xbe8c1d8e, v46, -v20
	v_dual_add_f32 v29, v30, v38 :: v_dual_mul_f32 v38, 0x3dbcf732, v45
	s_delay_alu instid0(VALU_DEP_3) | instskip(SKIP_1) | instid1(VALU_DEP_4)
	v_add_f32_e32 v30, v1, v41
	v_mul_hi_u32 v1, 0x2222223, v0
	v_add_f32_e32 v32, v20, v36
	v_fmamk_f32 v20, v46, 0x3dbcf732, v34
	v_fma_f32 v36, 0x3dbcf732, v46, -v34
	ds_store_2addr_b64 v23, v[21:22], v[2:3] offset1:1
	ds_store_2addr_b64 v23, v[6:7], v[10:11] offset0:2 offset1:3
	ds_store_2addr_b64 v23, v[14:15], v[18:19] offset0:4 offset1:5
	;; [unrolled: 1-line block ×3, first 2 shown]
	v_fmamk_f32 v35, v47, 0xbf7ee86f, v38
	v_fmac_f32_e32 v38, 0x3f7ee86f, v47
	v_add_f32_e32 v34, v20, v40
	v_mul_u32_u24_e32 v20, 0x78, v1
	s_delay_alu instid0(VALU_DEP_4) | instskip(NEXT) | instid1(VALU_DEP_4)
	v_dual_add_f32 v36, v36, v39 :: v_dual_add_f32 v35, v35, v44
	v_add_f32_e32 v37, v38, v48
	ds_store_2addr_b64 v23, v[34:35], v[36:37] offset0:8 offset1:9
	ds_store_2addr_b64 v23, v[32:33], v[28:29] offset0:10 offset1:11
	;; [unrolled: 1-line block ×4, first 2 shown]
	v_sub_nc_u32_e32 v0, v0, v20
	ds_store_b64 v23, v[4:5] offset:128
	global_wb scope:SCOPE_SE
	s_wait_dscnt 0x0
	s_barrier_signal -1
	s_barrier_wait -1
	v_add_nc_u32_e32 v2, s8, v0
	global_inv scope:SCOPE_SE
	v_cmp_gt_u32_e32 vcc_lo, s12, v2
	s_or_b32 s3, s3, vcc_lo
	s_delay_alu instid0(SALU_CYCLE_1)
	s_and_saveexec_b32 s9, s3
	s_cbranch_execz .LBB0_8
; %bb.7:
	v_mad_co_u64_u32 v[8:9], null, s4, v0, 0
	s_load_b64 s[0:1], s[0:1], 0x60
	v_mul_i32_i24_e32 v3, 0x88, v0
	v_mul_lo_u32 v10, v1, s2
	v_lshlrev_b32_e32 v4, 3, v1
	s_mov_b32 s9, s7
	s_mul_i32 s6, s13, s6
	s_delay_alu instid0(VALU_DEP_4) | instskip(SKIP_3) | instid1(VALU_DEP_1)
	v_dual_mov_b32 v2, v9 :: v_dual_mov_b32 v11, 0
	s_mul_u64 s[10:11], s[10:11], s[14:15]
	s_wait_alu 0xfffe
	s_lshl_b64 s[6:7], s[6:7], 3
	v_mad_co_u64_u32 v[0:1], null, s5, v0, v[2:3]
	s_mul_u64 s[4:5], s[4:5], s[8:9]
	v_lshlrev_b64_e32 v[12:13], 3, v[10:11]
	s_wait_alu 0xfffe
	s_lshl_b64 s[4:5], s[4:5], 3
	v_add_nc_u32_e32 v10, s2, v10
	s_lshl_b64 s[8:9], s[10:11], 3
	s_delay_alu instid0(VALU_DEP_3)
	v_mov_b32_e32 v9, v0
	v_add3_u32 v20, 0, v3, v4
	s_wait_kmcnt 0x0
	s_wait_alu 0xfffe
	s_add_nc_u64 s[0:1], s[0:1], s[4:5]
	v_lshlrev_b64_e32 v[14:15], 3, v[10:11]
	s_add_nc_u64 s[0:1], s[0:1], s[6:7]
	v_lshlrev_b64_e32 v[8:9], 3, v[8:9]
	ds_load_2addr_b64 v[0:3], v20 offset1:1
	ds_load_2addr_b64 v[4:7], v20 offset0:2 offset1:3
	v_add_nc_u32_e32 v10, s2, v10
	s_add_nc_u64 s[0:1], s[0:1], s[8:9]
	s_delay_alu instid0(SALU_CYCLE_1)
	v_add_co_u32 v21, vcc_lo, s0, v8
	s_wait_alu 0xfffd
	v_add_co_ci_u32_e32 v22, vcc_lo, s1, v9, vcc_lo
	v_lshlrev_b64_e32 v[8:9], 3, v[10:11]
	v_add_nc_u32_e32 v10, s2, v10
	v_add_co_u32 v12, vcc_lo, v21, v12
	s_wait_alu 0xfffd
	v_add_co_ci_u32_e32 v13, vcc_lo, v22, v13, vcc_lo
	v_add_co_u32 v14, vcc_lo, v21, v14
	v_lshlrev_b64_e32 v[16:17], 3, v[10:11]
	v_add_nc_u32_e32 v10, s2, v10
	s_wait_alu 0xfffd
	v_add_co_ci_u32_e32 v15, vcc_lo, v22, v15, vcc_lo
	v_add_co_u32 v8, vcc_lo, v21, v8
	s_wait_alu 0xfffd
	v_add_co_ci_u32_e32 v9, vcc_lo, v22, v9, vcc_lo
	v_add_co_u32 v16, vcc_lo, v21, v16
	v_lshlrev_b64_e32 v[18:19], 3, v[10:11]
	v_add_nc_u32_e32 v10, s2, v10
	s_wait_alu 0xfffd
	v_add_co_ci_u32_e32 v17, vcc_lo, v22, v17, vcc_lo
	s_wait_dscnt 0x1
	s_clause 0x1
	global_store_b64 v[12:13], v[0:1], off
	global_store_b64 v[14:15], v[2:3], off
	s_wait_dscnt 0x0
	s_clause 0x1
	global_store_b64 v[8:9], v[4:5], off
	global_store_b64 v[16:17], v[6:7], off
	ds_load_2addr_b64 v[0:3], v20 offset0:4 offset1:5
	ds_load_2addr_b64 v[4:7], v20 offset0:6 offset1:7
	v_lshlrev_b64_e32 v[8:9], 3, v[10:11]
	v_add_nc_u32_e32 v10, s2, v10
	v_add_co_u32 v12, vcc_lo, v21, v18
	s_wait_alu 0xfffd
	v_add_co_ci_u32_e32 v13, vcc_lo, v22, v19, vcc_lo
	s_delay_alu instid0(VALU_DEP_3) | instskip(SKIP_4) | instid1(VALU_DEP_3)
	v_lshlrev_b64_e32 v[14:15], 3, v[10:11]
	v_add_nc_u32_e32 v10, s2, v10
	v_add_co_u32 v8, vcc_lo, v21, v8
	s_wait_alu 0xfffd
	v_add_co_ci_u32_e32 v9, vcc_lo, v22, v9, vcc_lo
	v_lshlrev_b64_e32 v[16:17], 3, v[10:11]
	v_add_nc_u32_e32 v10, s2, v10
	v_add_co_u32 v14, vcc_lo, v21, v14
	s_wait_alu 0xfffd
	v_add_co_ci_u32_e32 v15, vcc_lo, v22, v15, vcc_lo
	s_delay_alu instid0(VALU_DEP_4)
	v_add_co_u32 v16, vcc_lo, v21, v16
	v_lshlrev_b64_e32 v[18:19], 3, v[10:11]
	v_add_nc_u32_e32 v10, s2, v10
	s_wait_alu 0xfffd
	v_add_co_ci_u32_e32 v17, vcc_lo, v22, v17, vcc_lo
	s_wait_dscnt 0x1
	s_clause 0x1
	global_store_b64 v[12:13], v[0:1], off
	global_store_b64 v[8:9], v[2:3], off
	s_wait_dscnt 0x0
	s_clause 0x1
	global_store_b64 v[14:15], v[4:5], off
	global_store_b64 v[16:17], v[6:7], off
	ds_load_2addr_b64 v[0:3], v20 offset0:8 offset1:9
	ds_load_2addr_b64 v[4:7], v20 offset0:10 offset1:11
	v_lshlrev_b64_e32 v[8:9], 3, v[10:11]
	v_add_nc_u32_e32 v10, s2, v10
	v_add_co_u32 v12, vcc_lo, v21, v18
	s_wait_alu 0xfffd
	v_add_co_ci_u32_e32 v13, vcc_lo, v22, v19, vcc_lo
	s_delay_alu instid0(VALU_DEP_3) | instskip(SKIP_4) | instid1(VALU_DEP_3)
	v_lshlrev_b64_e32 v[14:15], 3, v[10:11]
	v_add_nc_u32_e32 v10, s2, v10
	v_add_co_u32 v8, vcc_lo, v21, v8
	s_wait_alu 0xfffd
	v_add_co_ci_u32_e32 v9, vcc_lo, v22, v9, vcc_lo
	v_lshlrev_b64_e32 v[16:17], 3, v[10:11]
	v_add_nc_u32_e32 v10, s2, v10
	v_add_co_u32 v14, vcc_lo, v21, v14
	s_wait_alu 0xfffd
	v_add_co_ci_u32_e32 v15, vcc_lo, v22, v15, vcc_lo
	s_delay_alu instid0(VALU_DEP_3)
	v_lshlrev_b64_e32 v[18:19], 3, v[10:11]
	v_add_nc_u32_e32 v10, s2, v10
	v_add_co_u32 v16, vcc_lo, v21, v16
	s_wait_alu 0xfffd
	v_add_co_ci_u32_e32 v17, vcc_lo, v22, v17, vcc_lo
	s_wait_dscnt 0x1
	s_clause 0x1
	global_store_b64 v[12:13], v[0:1], off
	global_store_b64 v[8:9], v[2:3], off
	s_wait_dscnt 0x0
	s_clause 0x1
	global_store_b64 v[14:15], v[4:5], off
	global_store_b64 v[16:17], v[6:7], off
	v_lshlrev_b64_e32 v[8:9], 3, v[10:11]
	v_add_nc_u32_e32 v10, s2, v10
	ds_load_2addr_b64 v[0:3], v20 offset0:12 offset1:13
	ds_load_2addr_b64 v[4:7], v20 offset0:14 offset1:15
	v_add_co_u32 v12, vcc_lo, v21, v18
	ds_load_b64 v[16:17], v20 offset:128
	v_lshlrev_b64_e32 v[14:15], 3, v[10:11]
	v_add_nc_u32_e32 v10, s2, v10
	s_wait_alu 0xfffd
	v_add_co_ci_u32_e32 v13, vcc_lo, v22, v19, vcc_lo
	v_add_co_u32 v8, vcc_lo, v21, v8
	s_delay_alu instid0(VALU_DEP_3) | instskip(SKIP_4) | instid1(VALU_DEP_3)
	v_lshlrev_b64_e32 v[18:19], 3, v[10:11]
	v_add_nc_u32_e32 v10, s2, v10
	s_wait_alu 0xfffd
	v_add_co_ci_u32_e32 v9, vcc_lo, v22, v9, vcc_lo
	v_add_co_u32 v14, vcc_lo, v21, v14
	v_lshlrev_b64_e32 v[10:11], 3, v[10:11]
	s_wait_alu 0xfffd
	v_add_co_ci_u32_e32 v15, vcc_lo, v22, v15, vcc_lo
	v_add_co_u32 v18, vcc_lo, v21, v18
	s_wait_alu 0xfffd
	v_add_co_ci_u32_e32 v19, vcc_lo, v22, v19, vcc_lo
	v_add_co_u32 v10, vcc_lo, v21, v10
	s_wait_alu 0xfffd
	v_add_co_ci_u32_e32 v11, vcc_lo, v22, v11, vcc_lo
	s_wait_dscnt 0x2
	s_clause 0x1
	global_store_b64 v[12:13], v[0:1], off
	global_store_b64 v[8:9], v[2:3], off
	s_wait_dscnt 0x1
	s_clause 0x1
	global_store_b64 v[14:15], v[4:5], off
	global_store_b64 v[18:19], v[6:7], off
	s_wait_dscnt 0x0
	global_store_b64 v[10:11], v[16:17], off
.LBB0_8:
	s_nop 0
	s_sendmsg sendmsg(MSG_DEALLOC_VGPRS)
	s_endpgm
	.section	.rodata,"a",@progbits
	.p2align	6, 0x0
	.amdhsa_kernel fft_rtc_back_len17_factors_17_wgs_120_tpt_1_sp_op_CI_CI_sbrc_z_xy_unaligned
		.amdhsa_group_segment_fixed_size 0
		.amdhsa_private_segment_fixed_size 0
		.amdhsa_kernarg_size 104
		.amdhsa_user_sgpr_count 2
		.amdhsa_user_sgpr_dispatch_ptr 0
		.amdhsa_user_sgpr_queue_ptr 0
		.amdhsa_user_sgpr_kernarg_segment_ptr 1
		.amdhsa_user_sgpr_dispatch_id 0
		.amdhsa_user_sgpr_private_segment_size 0
		.amdhsa_wavefront_size32 1
		.amdhsa_uses_dynamic_stack 0
		.amdhsa_enable_private_segment 0
		.amdhsa_system_sgpr_workgroup_id_x 1
		.amdhsa_system_sgpr_workgroup_id_y 0
		.amdhsa_system_sgpr_workgroup_id_z 0
		.amdhsa_system_sgpr_workgroup_info 0
		.amdhsa_system_vgpr_workitem_id 0
		.amdhsa_next_free_vgpr 71
		.amdhsa_next_free_sgpr 26
		.amdhsa_reserve_vcc 1
		.amdhsa_float_round_mode_32 0
		.amdhsa_float_round_mode_16_64 0
		.amdhsa_float_denorm_mode_32 3
		.amdhsa_float_denorm_mode_16_64 3
		.amdhsa_fp16_overflow 0
		.amdhsa_workgroup_processor_mode 1
		.amdhsa_memory_ordered 1
		.amdhsa_forward_progress 0
		.amdhsa_round_robin_scheduling 0
		.amdhsa_exception_fp_ieee_invalid_op 0
		.amdhsa_exception_fp_denorm_src 0
		.amdhsa_exception_fp_ieee_div_zero 0
		.amdhsa_exception_fp_ieee_overflow 0
		.amdhsa_exception_fp_ieee_underflow 0
		.amdhsa_exception_fp_ieee_inexact 0
		.amdhsa_exception_int_div_zero 0
	.end_amdhsa_kernel
	.text
.Lfunc_end0:
	.size	fft_rtc_back_len17_factors_17_wgs_120_tpt_1_sp_op_CI_CI_sbrc_z_xy_unaligned, .Lfunc_end0-fft_rtc_back_len17_factors_17_wgs_120_tpt_1_sp_op_CI_CI_sbrc_z_xy_unaligned
                                        ; -- End function
	.section	.AMDGPU.csdata,"",@progbits
; Kernel info:
; codeLenInByte = 9532
; NumSgprs: 28
; NumVgprs: 71
; ScratchSize: 0
; MemoryBound: 0
; FloatMode: 240
; IeeeMode: 1
; LDSByteSize: 0 bytes/workgroup (compile time only)
; SGPRBlocks: 3
; VGPRBlocks: 8
; NumSGPRsForWavesPerEU: 28
; NumVGPRsForWavesPerEU: 71
; Occupancy: 16
; WaveLimiterHint : 1
; COMPUTE_PGM_RSRC2:SCRATCH_EN: 0
; COMPUTE_PGM_RSRC2:USER_SGPR: 2
; COMPUTE_PGM_RSRC2:TRAP_HANDLER: 0
; COMPUTE_PGM_RSRC2:TGID_X_EN: 1
; COMPUTE_PGM_RSRC2:TGID_Y_EN: 0
; COMPUTE_PGM_RSRC2:TGID_Z_EN: 0
; COMPUTE_PGM_RSRC2:TIDIG_COMP_CNT: 0
	.text
	.p2alignl 7, 3214868480
	.fill 96, 4, 3214868480
	.type	__hip_cuid_3a395ec853cb32b6,@object ; @__hip_cuid_3a395ec853cb32b6
	.section	.bss,"aw",@nobits
	.globl	__hip_cuid_3a395ec853cb32b6
__hip_cuid_3a395ec853cb32b6:
	.byte	0                               ; 0x0
	.size	__hip_cuid_3a395ec853cb32b6, 1

	.ident	"AMD clang version 19.0.0git (https://github.com/RadeonOpenCompute/llvm-project roc-6.4.0 25133 c7fe45cf4b819c5991fe208aaa96edf142730f1d)"
	.section	".note.GNU-stack","",@progbits
	.addrsig
	.addrsig_sym __hip_cuid_3a395ec853cb32b6
	.amdgpu_metadata
---
amdhsa.kernels:
  - .args:
      - .actual_access:  read_only
        .address_space:  global
        .offset:         0
        .size:           8
        .value_kind:     global_buffer
      - .offset:         8
        .size:           8
        .value_kind:     by_value
      - .actual_access:  read_only
        .address_space:  global
        .offset:         16
        .size:           8
        .value_kind:     global_buffer
      - .actual_access:  read_only
        .address_space:  global
        .offset:         24
        .size:           8
        .value_kind:     global_buffer
      - .actual_access:  read_only
        .address_space:  global
        .offset:         32
        .size:           8
        .value_kind:     global_buffer
      - .offset:         40
        .size:           8
        .value_kind:     by_value
      - .actual_access:  read_only
        .address_space:  global
        .offset:         48
        .size:           8
        .value_kind:     global_buffer
      - .actual_access:  read_only
        .address_space:  global
        .offset:         56
        .size:           8
        .value_kind:     global_buffer
      - .offset:         64
        .size:           4
        .value_kind:     by_value
      - .actual_access:  read_only
        .address_space:  global
        .offset:         72
        .size:           8
        .value_kind:     global_buffer
      - .actual_access:  read_only
        .address_space:  global
        .offset:         80
        .size:           8
        .value_kind:     global_buffer
      - .actual_access:  read_only
        .address_space:  global
        .offset:         88
        .size:           8
        .value_kind:     global_buffer
      - .actual_access:  write_only
        .address_space:  global
        .offset:         96
        .size:           8
        .value_kind:     global_buffer
    .group_segment_fixed_size: 0
    .kernarg_segment_align: 8
    .kernarg_segment_size: 104
    .language:       OpenCL C
    .language_version:
      - 2
      - 0
    .max_flat_workgroup_size: 120
    .name:           fft_rtc_back_len17_factors_17_wgs_120_tpt_1_sp_op_CI_CI_sbrc_z_xy_unaligned
    .private_segment_fixed_size: 0
    .sgpr_count:     28
    .sgpr_spill_count: 0
    .symbol:         fft_rtc_back_len17_factors_17_wgs_120_tpt_1_sp_op_CI_CI_sbrc_z_xy_unaligned.kd
    .uniform_work_group_size: 1
    .uses_dynamic_stack: false
    .vgpr_count:     71
    .vgpr_spill_count: 0
    .wavefront_size: 32
    .workgroup_processor_mode: 1
amdhsa.target:   amdgcn-amd-amdhsa--gfx1201
amdhsa.version:
  - 1
  - 2
...

	.end_amdgpu_metadata
